;; amdgpu-corpus repo=ROCm/composable_kernel kind=compiled arch=gfx90a opt=O3
	.text
	.amdgcn_target "amdgcn-amd-amdhsa--gfx90a"
	.amdhsa_code_object_version 6
	.section	.text._ZN2ckL12flush_icacheEv,"axG",@progbits,_ZN2ckL12flush_icacheEv,comdat
	.globl	_ZN2ckL12flush_icacheEv         ; -- Begin function _ZN2ckL12flush_icacheEv
	.p2align	8
	.type	_ZN2ckL12flush_icacheEv,@function
_ZN2ckL12flush_icacheEv:                ; @_ZN2ckL12flush_icacheEv
; %bb.0:
	;;#ASMSTART
	s_icache_inv 
	s_nop 0 
	s_nop 0 
	;; [unrolled: 1-line block ×16, first 2 shown]
	
	;;#ASMEND
	s_endpgm
	.section	.rodata,"a",@progbits
	.p2align	6, 0x0
	.amdhsa_kernel _ZN2ckL12flush_icacheEv
		.amdhsa_group_segment_fixed_size 0
		.amdhsa_private_segment_fixed_size 0
		.amdhsa_kernarg_size 0
		.amdhsa_user_sgpr_count 4
		.amdhsa_user_sgpr_private_segment_buffer 1
		.amdhsa_user_sgpr_dispatch_ptr 0
		.amdhsa_user_sgpr_queue_ptr 0
		.amdhsa_user_sgpr_kernarg_segment_ptr 0
		.amdhsa_user_sgpr_dispatch_id 0
		.amdhsa_user_sgpr_flat_scratch_init 0
		.amdhsa_user_sgpr_kernarg_preload_length 0
		.amdhsa_user_sgpr_kernarg_preload_offset 0
		.amdhsa_user_sgpr_private_segment_size 0
		.amdhsa_uses_dynamic_stack 0
		.amdhsa_system_sgpr_private_segment_wavefront_offset 0
		.amdhsa_system_sgpr_workgroup_id_x 1
		.amdhsa_system_sgpr_workgroup_id_y 0
		.amdhsa_system_sgpr_workgroup_id_z 0
		.amdhsa_system_sgpr_workgroup_info 0
		.amdhsa_system_vgpr_workitem_id 0
		.amdhsa_next_free_vgpr 1
		.amdhsa_next_free_sgpr 0
		.amdhsa_accum_offset 4
		.amdhsa_reserve_vcc 0
		.amdhsa_reserve_flat_scratch 0
		.amdhsa_float_round_mode_32 0
		.amdhsa_float_round_mode_16_64 0
		.amdhsa_float_denorm_mode_32 3
		.amdhsa_float_denorm_mode_16_64 3
		.amdhsa_dx10_clamp 1
		.amdhsa_ieee_mode 1
		.amdhsa_fp16_overflow 0
		.amdhsa_tg_split 0
		.amdhsa_exception_fp_ieee_invalid_op 0
		.amdhsa_exception_fp_denorm_src 0
		.amdhsa_exception_fp_ieee_div_zero 0
		.amdhsa_exception_fp_ieee_overflow 0
		.amdhsa_exception_fp_ieee_underflow 0
		.amdhsa_exception_fp_ieee_inexact 0
		.amdhsa_exception_int_div_zero 0
	.end_amdhsa_kernel
	.section	.text._ZN2ckL12flush_icacheEv,"axG",@progbits,_ZN2ckL12flush_icacheEv,comdat
.Lfunc_end0:
	.size	_ZN2ckL12flush_icacheEv, .Lfunc_end0-_ZN2ckL12flush_icacheEv
                                        ; -- End function
	.section	.AMDGPU.csdata,"",@progbits
; Kernel info:
; codeLenInByte = 140
; NumSgprs: 4
; NumVgprs: 0
; NumAgprs: 0
; TotalNumVgprs: 0
; ScratchSize: 0
; MemoryBound: 0
; FloatMode: 240
; IeeeMode: 1
; LDSByteSize: 0 bytes/workgroup (compile time only)
; SGPRBlocks: 0
; VGPRBlocks: 0
; NumSGPRsForWavesPerEU: 4
; NumVGPRsForWavesPerEU: 1
; AccumOffset: 4
; Occupancy: 8
; WaveLimiterHint : 0
; COMPUTE_PGM_RSRC2:SCRATCH_EN: 0
; COMPUTE_PGM_RSRC2:USER_SGPR: 4
; COMPUTE_PGM_RSRC2:TRAP_HANDLER: 0
; COMPUTE_PGM_RSRC2:TGID_X_EN: 1
; COMPUTE_PGM_RSRC2:TGID_Y_EN: 0
; COMPUTE_PGM_RSRC2:TGID_Z_EN: 0
; COMPUTE_PGM_RSRC2:TIDIG_COMP_CNT: 0
; COMPUTE_PGM_RSRC3_GFX90A:ACCUM_OFFSET: 0
; COMPUTE_PGM_RSRC3_GFX90A:TG_SPLIT: 0
	.section	.text._ZN2ck51kernel_gemm_multiple_d_xdl_cshuffle_lds_direct_loadINS_48GridwiseGemmMultipleD_Xdl_CShuffle_LdsDirectLoadINS_13tensor_layout4gemm8RowMajorENS3_11ColumnMajorENS_5TupleIJEEES4_ffDB19_ffS7_fNS_16tensor_operation12element_wise11PassThroughESB_SB_LNS_25InMemoryDataOperationEnumE0ELNS9_6device18GemmSpecializationE0ELi1ELi256ELi128ELi128ELi32ELi8ELi8ELi32ELi32ELi2ELi2ENS_8SequenceIJLi4ELi8ELi8EEEENSF_IJLi1ELi0ELi2EEEELi2ELi1ELi1ESG_SH_Li2ELi1ELi1ELi1ELi1ENSF_IJLi1ELi8ELi1ELi8EEEELi4ELNS_13LoopSchedulerE0ELNS_15PipelineVersionE2ES8_EEffS7_fSB_SB_SB_NS_16TensorDescriptorINS6_IJNS_5EmbedINS6_IJiiEEENS6_IJiNS_17integral_constantIiLi1EEEEEELb0EEENS_11PassThroughIiEESU_NS_7UnMergeINS6_IJiNSP_IiLi8EEEEEELb0EEESU_EEENS6_IJNSF_IJLi0EEEENSF_IJLi1EEEENSF_IJLi2EEEENSF_IJLi4EEEENSF_IJLi3EEEEEEENS6_IJNSF_IJLi1ELi2EEEES14_S13_NSF_IJLi5ELi6EEEENSF_IJLi7EEEEEEENSF_IJLi5ELi7ELi6EEEElEES1B_S7_NSM_INS6_IJSS_SU_SU_NSV_INS6_IJiNSP_IiLi128EEEEEELb0EEES1E_EEENS6_IJS10_S11_S12_S14_S13_EEENS6_IJS16_S14_S13_S17_NSF_IJLi7ELi8EEEEEEENSF_IJLi5ELi6ELi7ELi8EEEElEENS_31BlockToCTileMap_M00_N0_M01AdaptILi128ELi128ENSM_INS6_IJSS_SU_SU_EEENS6_IJS10_S11_S12_EEENS6_IJS16_S14_S13_EEENSF_IJLi3ELi4EEEElEEiEELb1ELi2EEEvPKT0_PKT1_T2_PT3_T4_T5_T6_T7_T8_T9_T10_T11_,"axG",@progbits,_ZN2ck51kernel_gemm_multiple_d_xdl_cshuffle_lds_direct_loadINS_48GridwiseGemmMultipleD_Xdl_CShuffle_LdsDirectLoadINS_13tensor_layout4gemm8RowMajorENS3_11ColumnMajorENS_5TupleIJEEES4_ffDB19_ffS7_fNS_16tensor_operation12element_wise11PassThroughESB_SB_LNS_25InMemoryDataOperationEnumE0ELNS9_6device18GemmSpecializationE0ELi1ELi256ELi128ELi128ELi32ELi8ELi8ELi32ELi32ELi2ELi2ENS_8SequenceIJLi4ELi8ELi8EEEENSF_IJLi1ELi0ELi2EEEELi2ELi1ELi1ESG_SH_Li2ELi1ELi1ELi1ELi1ENSF_IJLi1ELi8ELi1ELi8EEEELi4ELNS_13LoopSchedulerE0ELNS_15PipelineVersionE2ES8_EEffS7_fSB_SB_SB_NS_16TensorDescriptorINS6_IJNS_5EmbedINS6_IJiiEEENS6_IJiNS_17integral_constantIiLi1EEEEEELb0EEENS_11PassThroughIiEESU_NS_7UnMergeINS6_IJiNSP_IiLi8EEEEEELb0EEESU_EEENS6_IJNSF_IJLi0EEEENSF_IJLi1EEEENSF_IJLi2EEEENSF_IJLi4EEEENSF_IJLi3EEEEEEENS6_IJNSF_IJLi1ELi2EEEES14_S13_NSF_IJLi5ELi6EEEENSF_IJLi7EEEEEEENSF_IJLi5ELi7ELi6EEEElEES1B_S7_NSM_INS6_IJSS_SU_SU_NSV_INS6_IJiNSP_IiLi128EEEEEELb0EEES1E_EEENS6_IJS10_S11_S12_S14_S13_EEENS6_IJS16_S14_S13_S17_NSF_IJLi7ELi8EEEEEEENSF_IJLi5ELi6ELi7ELi8EEEElEENS_31BlockToCTileMap_M00_N0_M01AdaptILi128ELi128ENSM_INS6_IJSS_SU_SU_EEENS6_IJS10_S11_S12_EEENS6_IJS16_S14_S13_EEENSF_IJLi3ELi4EEEElEEiEELb1ELi2EEEvPKT0_PKT1_T2_PT3_T4_T5_T6_T7_T8_T9_T10_T11_,comdat
	.protected	_ZN2ck51kernel_gemm_multiple_d_xdl_cshuffle_lds_direct_loadINS_48GridwiseGemmMultipleD_Xdl_CShuffle_LdsDirectLoadINS_13tensor_layout4gemm8RowMajorENS3_11ColumnMajorENS_5TupleIJEEES4_ffDB19_ffS7_fNS_16tensor_operation12element_wise11PassThroughESB_SB_LNS_25InMemoryDataOperationEnumE0ELNS9_6device18GemmSpecializationE0ELi1ELi256ELi128ELi128ELi32ELi8ELi8ELi32ELi32ELi2ELi2ENS_8SequenceIJLi4ELi8ELi8EEEENSF_IJLi1ELi0ELi2EEEELi2ELi1ELi1ESG_SH_Li2ELi1ELi1ELi1ELi1ENSF_IJLi1ELi8ELi1ELi8EEEELi4ELNS_13LoopSchedulerE0ELNS_15PipelineVersionE2ES8_EEffS7_fSB_SB_SB_NS_16TensorDescriptorINS6_IJNS_5EmbedINS6_IJiiEEENS6_IJiNS_17integral_constantIiLi1EEEEEELb0EEENS_11PassThroughIiEESU_NS_7UnMergeINS6_IJiNSP_IiLi8EEEEEELb0EEESU_EEENS6_IJNSF_IJLi0EEEENSF_IJLi1EEEENSF_IJLi2EEEENSF_IJLi4EEEENSF_IJLi3EEEEEEENS6_IJNSF_IJLi1ELi2EEEES14_S13_NSF_IJLi5ELi6EEEENSF_IJLi7EEEEEEENSF_IJLi5ELi7ELi6EEEElEES1B_S7_NSM_INS6_IJSS_SU_SU_NSV_INS6_IJiNSP_IiLi128EEEEEELb0EEES1E_EEENS6_IJS10_S11_S12_S14_S13_EEENS6_IJS16_S14_S13_S17_NSF_IJLi7ELi8EEEEEEENSF_IJLi5ELi6ELi7ELi8EEEElEENS_31BlockToCTileMap_M00_N0_M01AdaptILi128ELi128ENSM_INS6_IJSS_SU_SU_EEENS6_IJS10_S11_S12_EEENS6_IJS16_S14_S13_EEENSF_IJLi3ELi4EEEElEEiEELb1ELi2EEEvPKT0_PKT1_T2_PT3_T4_T5_T6_T7_T8_T9_T10_T11_ ; -- Begin function _ZN2ck51kernel_gemm_multiple_d_xdl_cshuffle_lds_direct_loadINS_48GridwiseGemmMultipleD_Xdl_CShuffle_LdsDirectLoadINS_13tensor_layout4gemm8RowMajorENS3_11ColumnMajorENS_5TupleIJEEES4_ffDB19_ffS7_fNS_16tensor_operation12element_wise11PassThroughESB_SB_LNS_25InMemoryDataOperationEnumE0ELNS9_6device18GemmSpecializationE0ELi1ELi256ELi128ELi128ELi32ELi8ELi8ELi32ELi32ELi2ELi2ENS_8SequenceIJLi4ELi8ELi8EEEENSF_IJLi1ELi0ELi2EEEELi2ELi1ELi1ESG_SH_Li2ELi1ELi1ELi1ELi1ENSF_IJLi1ELi8ELi1ELi8EEEELi4ELNS_13LoopSchedulerE0ELNS_15PipelineVersionE2ES8_EEffS7_fSB_SB_SB_NS_16TensorDescriptorINS6_IJNS_5EmbedINS6_IJiiEEENS6_IJiNS_17integral_constantIiLi1EEEEEELb0EEENS_11PassThroughIiEESU_NS_7UnMergeINS6_IJiNSP_IiLi8EEEEEELb0EEESU_EEENS6_IJNSF_IJLi0EEEENSF_IJLi1EEEENSF_IJLi2EEEENSF_IJLi4EEEENSF_IJLi3EEEEEEENS6_IJNSF_IJLi1ELi2EEEES14_S13_NSF_IJLi5ELi6EEEENSF_IJLi7EEEEEEENSF_IJLi5ELi7ELi6EEEElEES1B_S7_NSM_INS6_IJSS_SU_SU_NSV_INS6_IJiNSP_IiLi128EEEEEELb0EEES1E_EEENS6_IJS10_S11_S12_S14_S13_EEENS6_IJS16_S14_S13_S17_NSF_IJLi7ELi8EEEEEEENSF_IJLi5ELi6ELi7ELi8EEEElEENS_31BlockToCTileMap_M00_N0_M01AdaptILi128ELi128ENSM_INS6_IJSS_SU_SU_EEENS6_IJS10_S11_S12_EEENS6_IJS16_S14_S13_EEENSF_IJLi3ELi4EEEElEEiEELb1ELi2EEEvPKT0_PKT1_T2_PT3_T4_T5_T6_T7_T8_T9_T10_T11_
	.globl	_ZN2ck51kernel_gemm_multiple_d_xdl_cshuffle_lds_direct_loadINS_48GridwiseGemmMultipleD_Xdl_CShuffle_LdsDirectLoadINS_13tensor_layout4gemm8RowMajorENS3_11ColumnMajorENS_5TupleIJEEES4_ffDB19_ffS7_fNS_16tensor_operation12element_wise11PassThroughESB_SB_LNS_25InMemoryDataOperationEnumE0ELNS9_6device18GemmSpecializationE0ELi1ELi256ELi128ELi128ELi32ELi8ELi8ELi32ELi32ELi2ELi2ENS_8SequenceIJLi4ELi8ELi8EEEENSF_IJLi1ELi0ELi2EEEELi2ELi1ELi1ESG_SH_Li2ELi1ELi1ELi1ELi1ENSF_IJLi1ELi8ELi1ELi8EEEELi4ELNS_13LoopSchedulerE0ELNS_15PipelineVersionE2ES8_EEffS7_fSB_SB_SB_NS_16TensorDescriptorINS6_IJNS_5EmbedINS6_IJiiEEENS6_IJiNS_17integral_constantIiLi1EEEEEELb0EEENS_11PassThroughIiEESU_NS_7UnMergeINS6_IJiNSP_IiLi8EEEEEELb0EEESU_EEENS6_IJNSF_IJLi0EEEENSF_IJLi1EEEENSF_IJLi2EEEENSF_IJLi4EEEENSF_IJLi3EEEEEEENS6_IJNSF_IJLi1ELi2EEEES14_S13_NSF_IJLi5ELi6EEEENSF_IJLi7EEEEEEENSF_IJLi5ELi7ELi6EEEElEES1B_S7_NSM_INS6_IJSS_SU_SU_NSV_INS6_IJiNSP_IiLi128EEEEEELb0EEES1E_EEENS6_IJS10_S11_S12_S14_S13_EEENS6_IJS16_S14_S13_S17_NSF_IJLi7ELi8EEEEEEENSF_IJLi5ELi6ELi7ELi8EEEElEENS_31BlockToCTileMap_M00_N0_M01AdaptILi128ELi128ENSM_INS6_IJSS_SU_SU_EEENS6_IJS10_S11_S12_EEENS6_IJS16_S14_S13_EEENSF_IJLi3ELi4EEEElEEiEELb1ELi2EEEvPKT0_PKT1_T2_PT3_T4_T5_T6_T7_T8_T9_T10_T11_
	.p2align	8
	.type	_ZN2ck51kernel_gemm_multiple_d_xdl_cshuffle_lds_direct_loadINS_48GridwiseGemmMultipleD_Xdl_CShuffle_LdsDirectLoadINS_13tensor_layout4gemm8RowMajorENS3_11ColumnMajorENS_5TupleIJEEES4_ffDB19_ffS7_fNS_16tensor_operation12element_wise11PassThroughESB_SB_LNS_25InMemoryDataOperationEnumE0ELNS9_6device18GemmSpecializationE0ELi1ELi256ELi128ELi128ELi32ELi8ELi8ELi32ELi32ELi2ELi2ENS_8SequenceIJLi4ELi8ELi8EEEENSF_IJLi1ELi0ELi2EEEELi2ELi1ELi1ESG_SH_Li2ELi1ELi1ELi1ELi1ENSF_IJLi1ELi8ELi1ELi8EEEELi4ELNS_13LoopSchedulerE0ELNS_15PipelineVersionE2ES8_EEffS7_fSB_SB_SB_NS_16TensorDescriptorINS6_IJNS_5EmbedINS6_IJiiEEENS6_IJiNS_17integral_constantIiLi1EEEEEELb0EEENS_11PassThroughIiEESU_NS_7UnMergeINS6_IJiNSP_IiLi8EEEEEELb0EEESU_EEENS6_IJNSF_IJLi0EEEENSF_IJLi1EEEENSF_IJLi2EEEENSF_IJLi4EEEENSF_IJLi3EEEEEEENS6_IJNSF_IJLi1ELi2EEEES14_S13_NSF_IJLi5ELi6EEEENSF_IJLi7EEEEEEENSF_IJLi5ELi7ELi6EEEElEES1B_S7_NSM_INS6_IJSS_SU_SU_NSV_INS6_IJiNSP_IiLi128EEEEEELb0EEES1E_EEENS6_IJS10_S11_S12_S14_S13_EEENS6_IJS16_S14_S13_S17_NSF_IJLi7ELi8EEEEEEENSF_IJLi5ELi6ELi7ELi8EEEElEENS_31BlockToCTileMap_M00_N0_M01AdaptILi128ELi128ENSM_INS6_IJSS_SU_SU_EEENS6_IJS10_S11_S12_EEENS6_IJS16_S14_S13_EEENSF_IJLi3ELi4EEEElEEiEELb1ELi2EEEvPKT0_PKT1_T2_PT3_T4_T5_T6_T7_T8_T9_T10_T11_,@function
_ZN2ck51kernel_gemm_multiple_d_xdl_cshuffle_lds_direct_loadINS_48GridwiseGemmMultipleD_Xdl_CShuffle_LdsDirectLoadINS_13tensor_layout4gemm8RowMajorENS3_11ColumnMajorENS_5TupleIJEEES4_ffDB19_ffS7_fNS_16tensor_operation12element_wise11PassThroughESB_SB_LNS_25InMemoryDataOperationEnumE0ELNS9_6device18GemmSpecializationE0ELi1ELi256ELi128ELi128ELi32ELi8ELi8ELi32ELi32ELi2ELi2ENS_8SequenceIJLi4ELi8ELi8EEEENSF_IJLi1ELi0ELi2EEEELi2ELi1ELi1ESG_SH_Li2ELi1ELi1ELi1ELi1ENSF_IJLi1ELi8ELi1ELi8EEEELi4ELNS_13LoopSchedulerE0ELNS_15PipelineVersionE2ES8_EEffS7_fSB_SB_SB_NS_16TensorDescriptorINS6_IJNS_5EmbedINS6_IJiiEEENS6_IJiNS_17integral_constantIiLi1EEEEEELb0EEENS_11PassThroughIiEESU_NS_7UnMergeINS6_IJiNSP_IiLi8EEEEEELb0EEESU_EEENS6_IJNSF_IJLi0EEEENSF_IJLi1EEEENSF_IJLi2EEEENSF_IJLi4EEEENSF_IJLi3EEEEEEENS6_IJNSF_IJLi1ELi2EEEES14_S13_NSF_IJLi5ELi6EEEENSF_IJLi7EEEEEEENSF_IJLi5ELi7ELi6EEEElEES1B_S7_NSM_INS6_IJSS_SU_SU_NSV_INS6_IJiNSP_IiLi128EEEEEELb0EEES1E_EEENS6_IJS10_S11_S12_S14_S13_EEENS6_IJS16_S14_S13_S17_NSF_IJLi7ELi8EEEEEEENSF_IJLi5ELi6ELi7ELi8EEEElEENS_31BlockToCTileMap_M00_N0_M01AdaptILi128ELi128ENSM_INS6_IJSS_SU_SU_EEENS6_IJS10_S11_S12_EEENS6_IJS16_S14_S13_EEENSF_IJLi3ELi4EEEElEEiEELb1ELi2EEEvPKT0_PKT1_T2_PT3_T4_T5_T6_T7_T8_T9_T10_T11_: ; @_ZN2ck51kernel_gemm_multiple_d_xdl_cshuffle_lds_direct_loadINS_48GridwiseGemmMultipleD_Xdl_CShuffle_LdsDirectLoadINS_13tensor_layout4gemm8RowMajorENS3_11ColumnMajorENS_5TupleIJEEES4_ffDB19_ffS7_fNS_16tensor_operation12element_wise11PassThroughESB_SB_LNS_25InMemoryDataOperationEnumE0ELNS9_6device18GemmSpecializationE0ELi1ELi256ELi128ELi128ELi32ELi8ELi8ELi32ELi32ELi2ELi2ENS_8SequenceIJLi4ELi8ELi8EEEENSF_IJLi1ELi0ELi2EEEELi2ELi1ELi1ESG_SH_Li2ELi1ELi1ELi1ELi1ENSF_IJLi1ELi8ELi1ELi8EEEELi4ELNS_13LoopSchedulerE0ELNS_15PipelineVersionE2ES8_EEffS7_fSB_SB_SB_NS_16TensorDescriptorINS6_IJNS_5EmbedINS6_IJiiEEENS6_IJiNS_17integral_constantIiLi1EEEEEELb0EEENS_11PassThroughIiEESU_NS_7UnMergeINS6_IJiNSP_IiLi8EEEEEELb0EEESU_EEENS6_IJNSF_IJLi0EEEENSF_IJLi1EEEENSF_IJLi2EEEENSF_IJLi4EEEENSF_IJLi3EEEEEEENS6_IJNSF_IJLi1ELi2EEEES14_S13_NSF_IJLi5ELi6EEEENSF_IJLi7EEEEEEENSF_IJLi5ELi7ELi6EEEElEES1B_S7_NSM_INS6_IJSS_SU_SU_NSV_INS6_IJiNSP_IiLi128EEEEEELb0EEES1E_EEENS6_IJS10_S11_S12_S14_S13_EEENS6_IJS16_S14_S13_S17_NSF_IJLi7ELi8EEEEEEENSF_IJLi5ELi6ELi7ELi8EEEElEENS_31BlockToCTileMap_M00_N0_M01AdaptILi128ELi128ENSM_INS6_IJSS_SU_SU_EEENS6_IJS10_S11_S12_EEENS6_IJS16_S14_S13_EEENSF_IJLi3ELi4EEEElEEiEELb1ELi2EEEvPKT0_PKT1_T2_PT3_T4_T5_T6_T7_T8_T9_T10_T11_
; %bb.0:
	s_load_dwordx4 s[8:11], s[4:5], 0xd8
	s_load_dword s2, s[4:5], 0xe8
	v_lshrrev_b32_e32 v3, 5, v0
	v_and_b32_e32 v86, 0xc0, v0
	v_and_b32_e32 v8, 63, v0
	s_waitcnt lgkmcnt(0)
	s_add_i32 s1, s10, 0x7f
	s_ashr_i32 s3, s1, 31
	s_add_i32 s0, s11, 0x7f
	s_lshr_b32 s3, s3, 25
	s_add_i32 s3, s1, s3
	s_ashr_i32 s1, s0, 31
	s_lshr_b32 s1, s1, 25
	s_add_i32 s0, s0, s1
	s_ashr_i32 s7, s3, 7
	s_ashr_i32 s10, s0, 7
	s_mul_i32 s0, s10, s7
	s_abs_i32 s0, s0
	v_cvt_f32_u32_e32 v1, s0
	s_sub_i32 s9, 0, s0
	s_ashr_i32 s1, s6, 31
	s_abs_i32 s6, s6
	v_rcp_iflag_f32_e32 v1, v1
	v_and_b32_e32 v9, 32, v0
	v_lshrrev_b32_e32 v10, 2, v0
	v_lshlrev_b32_e32 v85, 4, v0
	v_mul_f32_e32 v1, 0x4f7ffffe, v1
	v_cvt_u32_f32_e32 v1, v1
	v_or_b32_e32 v87, 0x100, v86
	v_sub_u32_e32 v8, v8, v9
	v_and_b32_e32 v10, 32, v10
	v_readfirstlane_b32 s11, v1
	s_mul_i32 s9, s9, s11
	s_mul_hi_u32 s9, s11, s9
	s_add_i32 s11, s11, s9
	s_mul_hi_u32 s9, s6, s11
	s_mul_i32 s9, s9, s0
	s_sub_i32 s6, s6, s9
	s_sub_i32 s9, s6, s0
	s_cmp_ge_u32 s6, s0
	s_cselect_b32 s6, s9, s6
	s_sub_i32 s9, s6, s0
	s_cmp_ge_u32 s6, s0
	s_cselect_b32 s0, s9, s6
	s_abs_i32 s6, s10
	v_cvt_f32_u32_e32 v1, s6
	s_xor_b32 s0, s0, s1
	s_sub_i32 s11, s0, s1
	s_xor_b32 s0, s11, s10
	v_rcp_iflag_f32_e32 v1, v1
	s_sub_i32 s9, 0, s6
	s_ashr_i32 s12, s0, 31
	s_abs_i32 s1, s11
	v_mul_f32_e32 v1, 0x4f7ffffe, v1
	v_cvt_u32_f32_e32 v1, v1
	v_and_b32_e32 v11, 0x400, v85
	v_or_b32_e32 v88, 0x200, v86
	v_add_u32_e32 v10, v8, v10
	v_readfirstlane_b32 s0, v1
	s_mul_i32 s9, s9, s0
	s_mul_hi_u32 s9, s0, s9
	s_add_i32 s0, s0, s9
	s_mul_hi_u32 s0, s1, s0
	s_mul_i32 s9, s0, s6
	s_sub_i32 s1, s1, s9
	s_add_i32 s13, s0, 1
	s_sub_i32 s9, s1, s6
	s_cmp_ge_u32 s1, s6
	s_cselect_b32 s0, s13, s0
	s_cselect_b32 s1, s9, s1
	s_add_i32 s9, s0, 1
	s_cmp_ge_u32 s1, s6
	s_cselect_b32 s6, s9, s0
	s_abs_i32 s9, s2
	v_cvt_f32_u32_e32 v1, s9
	s_sub_i32 s14, 0, s9
	s_abs_i32 s13, s7
	s_xor_b32 s6, s6, s12
	v_rcp_iflag_f32_e32 v1, v1
	s_ashr_i32 s3, s3, 31
	s_sub_i32 s6, s6, s12
	s_mul_i32 s12, s6, s10
	v_mul_f32_e32 v1, 0x4f7ffffe, v1
	v_cvt_u32_f32_e32 v1, v1
	s_load_dwordx4 s[16:19], s[4:5], 0x0
	s_load_dwordx2 s[0:1], s[4:5], 0x18
	v_lshl_add_u32 v8, v8, 5, v11
	v_or_b32_e32 v89, 0x300, v86
	v_readfirstlane_b32 s15, v1
	s_mul_i32 s14, s14, s15
	s_mul_hi_u32 s14, s15, s14
	s_add_i32 s15, s15, s14
	s_mul_hi_u32 s14, s13, s15
	s_mul_i32 s14, s14, s9
	s_sub_i32 s13, s13, s14
	s_sub_i32 s14, s13, s9
	s_cmp_ge_u32 s13, s9
	s_cselect_b32 s13, s14, s13
	s_sub_i32 s14, s13, s9
	s_cmp_ge_u32 s13, s9
	s_cselect_b32 s13, s14, s13
	s_xor_b32 s13, s13, s3
	s_sub_i32 s3, s13, s3
	s_sub_i32 s7, s7, s3
	s_cmp_lt_i32 s6, s7
	s_cselect_b32 s2, s2, s3
	s_sub_i32 s3, s11, s12
	s_abs_i32 s11, s6
	s_mul_hi_u32 s12, s11, s15
	s_mul_i32 s12, s12, s9
	s_sub_i32 s11, s11, s12
	s_ashr_i32 s7, s6, 31
	s_sub_i32 s12, s11, s9
	s_cmp_ge_u32 s11, s9
	s_cselect_b32 s11, s12, s11
	s_sub_i32 s12, s11, s9
	s_cmp_ge_u32 s11, s9
	s_cselect_b32 s11, s12, s11
	s_abs_i32 s12, s2
	v_cvt_f32_u32_e32 v1, s12
	s_load_dword s20, s[4:5], 0x30
	s_load_dword s13, s[4:5], 0x40
	;; [unrolled: 1-line block ×6, first 2 shown]
	s_xor_b32 s4, s11, s7
	s_sub_i32 s4, s4, s7
	v_rcp_iflag_f32_e32 v1, v1
	s_mul_i32 s5, s4, s10
	s_sub_i32 s10, 0, s12
	s_add_i32 s5, s5, s3
	v_mul_f32_e32 v1, 0x4f7ffffe, v1
	v_cvt_u32_f32_e32 v1, v1
	s_abs_i32 s7, s5
	s_xor_b32 s3, s5, s2
	s_ashr_i32 s3, s3, 31
	v_readfirstlane_b32 s11, v1
	s_mul_i32 s10, s10, s11
	s_mul_hi_u32 s10, s11, s10
	s_add_i32 s11, s11, s10
	s_mul_hi_u32 s10, s7, s11
	s_mul_i32 s11, s10, s12
	s_sub_i32 s7, s7, s11
	s_add_i32 s11, s10, 1
	s_sub_i32 s22, s7, s12
	s_cmp_ge_u32 s7, s12
	s_cselect_b32 s10, s11, s10
	s_cselect_b32 s7, s22, s7
	s_add_i32 s11, s10, 1
	s_cmp_ge_u32 s7, s12
	s_cselect_b32 s7, s11, s10
	s_xor_b32 s7, s7, s3
	s_sub_i32 s3, s7, s3
	s_mul_i32 s2, s3, s2
	s_sub_i32 s2, s5, s2
	s_sub_i32 s4, s6, s4
	s_add_i32 s4, s4, s2
	s_waitcnt lgkmcnt(0)
	s_ashr_i32 s2, s13, 31
	s_lshl_b32 s10, s4, 7
	s_lshr_b32 s2, s2, 30
	v_add_u32_e32 v5, s10, v3
	s_add_i32 s13, s13, s2
	v_readfirstlane_b32 s2, v86
	s_lshl_b32 s11, s3, 7
	v_and_b32_e32 v1, 31, v0
	v_mul_lo_u32 v6, v5, s20
	s_lshl_b32 s3, s2, 2
	v_readfirstlane_b32 s12, v87
	s_lshl_b32 s6, s14, 2
	s_mov_b32 s7, 0x20000
	s_mov_b32 s4, s16
	;; [unrolled: 1-line block ×3, first 2 shown]
	v_add_lshl_u32 v11, v6, v1, 2
	s_mov_b32 m0, s3
	s_lshl_b32 s2, s20, 5
	s_lshl_b32 s16, s12, 2
	v_readfirstlane_b32 s12, v88
	buffer_load_dword v11, s[4:7], 0 offen lds
	v_add_u32_e32 v11, s2, v11
	s_mov_b32 m0, s16
	s_lshl_b32 s17, s12, 2
	v_readfirstlane_b32 s12, v89
	v_or_b32_e32 v90, 0x400, v86
	buffer_load_dword v11, s[4:7], 0 offen lds
	v_add_u32_e32 v11, s2, v11
	s_mov_b32 m0, s17
	s_lshl_b32 s23, s12, 2
	v_readfirstlane_b32 s12, v90
	v_or_b32_e32 v91, 0x500, v86
	;; [unrolled: 6-line block ×12, first 2 shown]
	buffer_load_dword v11, s[4:7], 0 offen lds
	v_add_u32_e32 v11, s2, v11
	s_mov_b32 m0, s34
	s_lshl_b32 s35, s12, 2
	v_readfirstlane_b32 s12, v102
	v_add_u32_e32 v3, s11, v3
	buffer_load_dword v11, s[4:7], 0 offen lds
	v_add_u32_e32 v11, s2, v11
	s_mov_b32 m0, s35
	s_lshl_b32 s36, s12, 2
	v_mul_lo_u32 v7, v3, s21
	buffer_load_dword v11, s[4:7], 0 offen lds
	v_add_u32_e32 v11, s2, v11
	s_mov_b32 m0, s36
	s_addk_i32 s3, 0x4000
	s_ashr_i32 s22, s13, 2
	buffer_load_dword v11, s[4:7], 0 offen lds
	s_lshl_b32 s14, s15, 2
	s_mov_b32 s12, s18
	s_mov_b32 s13, s19
	;; [unrolled: 1-line block ×3, first 2 shown]
	v_add_lshl_u32 v11, v7, v1, 2
	s_mov_b32 m0, s3
	s_lshl_b32 s3, s21, 5
	s_addk_i32 s16, 0x4000
	buffer_load_dword v11, s[12:15], 0 offen lds
	v_add_u32_e32 v11, s3, v11
	s_mov_b32 m0, s16
	s_addk_i32 s17, 0x4000
	buffer_load_dword v11, s[12:15], 0 offen lds
	v_add_u32_e32 v11, s3, v11
	s_mov_b32 m0, s17
	s_addk_i32 s23, 0x4000
	buffer_load_dword v11, s[12:15], 0 offen lds
	v_add_u32_e32 v11, s3, v11
	s_mov_b32 m0, s23
	s_addk_i32 s24, 0x4000
	buffer_load_dword v11, s[12:15], 0 offen lds
	v_add_u32_e32 v11, s3, v11
	s_mov_b32 m0, s24
	s_addk_i32 s25, 0x4000
	buffer_load_dword v11, s[12:15], 0 offen lds
	v_add_u32_e32 v11, s3, v11
	s_mov_b32 m0, s25
	s_addk_i32 s26, 0x4000
	buffer_load_dword v11, s[12:15], 0 offen lds
	v_add_u32_e32 v11, s3, v11
	s_mov_b32 m0, s26
	s_addk_i32 s27, 0x4000
	buffer_load_dword v11, s[12:15], 0 offen lds
	v_add_u32_e32 v11, s3, v11
	s_mov_b32 m0, s27
	s_addk_i32 s28, 0x4000
	buffer_load_dword v11, s[12:15], 0 offen lds
	v_add_u32_e32 v11, s3, v11
	s_mov_b32 m0, s28
	s_addk_i32 s29, 0x4000
	buffer_load_dword v11, s[12:15], 0 offen lds
	v_add_u32_e32 v11, s3, v11
	s_mov_b32 m0, s29
	s_addk_i32 s30, 0x4000
	buffer_load_dword v11, s[12:15], 0 offen lds
	v_add_u32_e32 v11, s3, v11
	s_mov_b32 m0, s30
	s_addk_i32 s31, 0x4000
	buffer_load_dword v11, s[12:15], 0 offen lds
	v_add_u32_e32 v11, s3, v11
	s_mov_b32 m0, s31
	s_addk_i32 s33, 0x4000
	buffer_load_dword v11, s[12:15], 0 offen lds
	v_add_u32_e32 v11, s3, v11
	s_mov_b32 m0, s33
	s_addk_i32 s34, 0x4000
	buffer_load_dword v11, s[12:15], 0 offen lds
	v_add_u32_e32 v11, s3, v11
	s_mov_b32 m0, s34
	s_addk_i32 s35, 0x4000
	buffer_load_dword v11, s[12:15], 0 offen lds
	v_add_u32_e32 v11, s3, v11
	s_mov_b32 m0, s35
	s_addk_i32 s36, 0x4000
	buffer_load_dword v11, s[12:15], 0 offen lds
	v_add_u32_e32 v11, s3, v11
	s_mov_b32 m0, s36
	v_lshrrev_b32_e32 v84, 1, v0
	buffer_load_dword v11, s[12:15], 0 offen lds
	v_and_b32_e32 v9, 16, v84
	v_bfe_u32 v4, v0, 3, 2
	v_or_b32_e32 v8, v8, v9
	v_and_b32_e32 v2, 7, v0
	v_lshlrev_b32_e32 v103, 2, v8
	v_lshlrev_b32_e32 v8, 3, v4
	;; [unrolled: 1-line block ×3, first 2 shown]
	v_add3_u32 v7, v7, v8, v2
	v_add_u32_e32 v2, v6, v2
	v_lshl_or_b32 v96, v10, 7, v9
	v_mov_b32_e32 v9, 0x80
	v_lshlrev_b32_e32 v6, 2, v2
	v_add_u32_e32 v2, v2, v8
	s_movk_i32 s17, 0x80
	v_add_lshl_u32 v4, s20, v4, 5
	v_lshl_add_u32 v107, v2, 2, v9
	v_lshlrev_b32_e32 v2, 2, v5
	v_add3_u32 v106, v4, v6, s17
	v_sub_u32_e32 v4, 0xfffffe20, v2
	v_lshl_add_u32 v2, v3, 2, 32
	s_add_i32 s22, s22, -1
	v_mul_lo_u32 v2, s21, v2
	v_mov_b32_e32 v18, 0
	s_max_i32 s16, s22, 1
	v_add_u32_e32 v104, 0x4000, v103
	v_lshl_add_u32 v105, v7, 2, v9
	v_mad_u64_u32 v[82:83], s[18:19], s20, v4, v[2:3]
	v_mov_b32_e32 v19, v18
	v_mov_b32_e32 v20, v18
	;; [unrolled: 1-line block ×63, first 2 shown]
.LBB1_1:                                ; =>This Inner Loop Header: Depth=1
	;;#ASMSTART
	    s_waitcnt vmcnt(0) 
     s_waitcnt lgkmcnt(0) 
     s_barrier     
	;;#ASMEND
	s_waitcnt vmcnt(0)
	ds_read_b128 v[66:69], v96
	ds_read_b128 v[70:73], v103 offset:16384
	ds_read_b128 v[74:77], v96 offset:16
	;; [unrolled: 1-line block ×5, first 2 shown]
	s_waitcnt lgkmcnt(4)
	v_mfma_f32_32x32x2f32 v[50:65], v66, v70, v[50:65]
	v_readfirstlane_b32 s17, v86
	v_readfirstlane_b32 s18, v87
	s_lshl_b32 s17, s17, 2
	v_readfirstlane_b32 s19, v88
	s_lshl_b32 s18, s18, 2
	s_mov_b32 m0, s17
	v_readfirstlane_b32 s20, v89
	s_lshl_b32 s19, s19, 2
	v_readfirstlane_b32 s21, v90
	s_lshl_b32 s20, s20, 2
	;; [unrolled: 2-line block ×4, first 2 shown]
	v_readfirstlane_b32 s24, v93
	s_waitcnt lgkmcnt(1)
	v_mfma_f32_32x32x2f32 v[34:49], v66, v108, v[34:49]
	s_lshl_b32 s23, s23, 2
	v_readfirstlane_b32 s25, v94
	s_lshl_b32 s24, s24, 2
	v_readfirstlane_b32 s26, v95
	;; [unrolled: 2-line block ×7, first 2 shown]
	s_lshl_b32 s30, s30, 2
	s_waitcnt lgkmcnt(0)
	v_mfma_f32_32x32x2f32 v[2:17], v112, v70, v[2:17]
	v_readfirstlane_b32 s33, v102
	s_lshl_b32 s31, s31, 2
	s_lshl_b32 s33, s33, 2
	s_add_i32 s34, s17, 0x4000
	s_add_i32 s35, s18, 0x4000
	;; [unrolled: 1-line block ×12, first 2 shown]
	v_mfma_f32_32x32x2f32 v[18:33], v112, v108, v[18:33]
	s_add_i32 s46, s29, 0x4000
	s_add_i32 s47, s30, 0x4000
	;; [unrolled: 1-line block ×4, first 2 shown]
	s_add_i32 s16, s16, -1
	s_cmp_lg_u32 s16, 0
	v_mfma_f32_32x32x2f32 v[50:65], v67, v71, v[50:65]
	v_mfma_f32_32x32x2f32 v[34:49], v67, v109, v[34:49]
	;; [unrolled: 1-line block ×10, first 2 shown]
	ds_read_b128 v[66:69], v103 offset:24592
	v_mfma_f32_32x32x2f32 v[2:17], v115, v73, v[2:17]
	ds_read_b128 v[70:73], v96 offset:8208
	v_mfma_f32_32x32x2f32 v[18:33], v115, v111, v[18:33]
	v_mfma_f32_32x32x2f32 v[50:65], v74, v78, v[50:65]
	s_waitcnt lgkmcnt(1)
	v_mfma_f32_32x32x2f32 v[34:49], v74, v66, v[34:49]
	s_waitcnt lgkmcnt(0)
	v_mfma_f32_32x32x2f32 v[2:17], v70, v78, v[2:17]
	v_mfma_f32_32x32x2f32 v[18:33], v70, v66, v[18:33]
	;; [unrolled: 1-line block ×14, first 2 shown]
	ds_read_b128 v[74:77], v96 offset:32
	ds_read_b128 v[78:81], v104 offset:32
	;; [unrolled: 1-line block ×6, first 2 shown]
	s_waitcnt lgkmcnt(4)
	v_mfma_f32_32x32x2f32 v[50:65], v74, v78, v[50:65]
	s_waitcnt lgkmcnt(1)
	v_mfma_f32_32x32x2f32 v[34:49], v74, v108, v[34:49]
	;; [unrolled: 2-line block ×3, first 2 shown]
	v_mfma_f32_32x32x2f32 v[50:65], v75, v79, v[50:65]
	v_mfma_f32_32x32x2f32 v[34:49], v75, v109, v[34:49]
	;; [unrolled: 1-line block ×10, first 2 shown]
	ds_read_b128 v[74:77], v103 offset:24624
	v_mfma_f32_32x32x2f32 v[2:17], v115, v81, v[2:17]
	ds_read_b128 v[78:81], v96 offset:8240
	;;#ASMSTART
	    s_waitcnt vmcnt(0) 
     s_waitcnt lgkmcnt(0) 
     s_barrier     
	;;#ASMEND
	buffer_load_dword v107, s[4:7], 0 offen lds
	s_mov_b32 m0, s18
	v_add_u32_e32 v107, 0x80, v107
	buffer_load_dword v106, s[4:7], 0 offen lds
	s_mov_b32 m0, s19
	v_mfma_f32_32x32x2f32 v[18:33], v114, v110, v[18:33]
	v_mfma_f32_32x32x2f32 v[50:65], v70, v66, v[50:65]
	s_waitcnt lgkmcnt(1)
	v_mfma_f32_32x32x2f32 v[34:49], v70, v74, v[34:49]
	s_waitcnt lgkmcnt(0)
	v_mfma_f32_32x32x2f32 v[2:17], v78, v66, v[2:17]
	v_add_u32_e32 v66, s2, v106
	buffer_load_dword v66, s[4:7], 0 offen lds
	s_mov_b32 m0, s20
	v_add_u32_e32 v106, 0x80, v106
	v_mfma_f32_32x32x2f32 v[18:33], v115, v111, v[18:33]
	v_mfma_f32_32x32x2f32 v[50:65], v71, v67, v[50:65]
	v_mfma_f32_32x32x2f32 v[34:49], v71, v75, v[34:49]
	v_mfma_f32_32x32x2f32 v[2:17], v79, v67, v[2:17]
	v_add_u32_e32 v67, s2, v66
	v_add_u32_e32 v70, s2, v67
	buffer_load_dword v67, s[4:7], 0 offen lds
	s_mov_b32 m0, s21
	v_add_u32_e32 v71, s2, v70
	buffer_load_dword v70, s[4:7], 0 offen lds
	s_mov_b32 m0, s22
	s_nop 0
	buffer_load_dword v71, s[4:7], 0 offen lds
	s_mov_b32 m0, s23
	v_mfma_f32_32x32x2f32 v[18:33], v78, v74, v[18:33]
	v_add_u32_e32 v74, s2, v71
	v_add_u32_e32 v66, s2, v74
	buffer_load_dword v74, s[4:7], 0 offen lds
	s_mov_b32 m0, s24
	v_add_u32_e32 v67, s2, v66
	buffer_load_dword v66, s[4:7], 0 offen lds
	s_mov_b32 m0, s25
	;; [unrolled: 3-line block ×4, first 2 shown]
	s_nop 0
	buffer_load_dword v71, s[4:7], 0 offen lds
	v_mfma_f32_32x32x2f32 v[50:65], v72, v68, v[50:65]
	s_mov_b32 m0, s28
	v_mfma_f32_32x32x2f32 v[34:49], v72, v76, v[34:49]
	v_add_u32_e32 v72, s2, v71
	v_add_u32_e32 v66, s2, v72
	buffer_load_dword v72, s[4:7], 0 offen lds
	s_mov_b32 m0, s29
	v_add_u32_e32 v67, s2, v66
	buffer_load_dword v66, s[4:7], 0 offen lds
	s_mov_b32 m0, s30
	s_nop 0
	buffer_load_dword v67, s[4:7], 0 offen lds
	s_mov_b32 m0, s31
	v_mfma_f32_32x32x2f32 v[2:17], v80, v68, v[2:17]
	v_add_u32_e32 v68, s2, v67
	v_add_u32_e32 v70, s2, v68
	buffer_load_dword v68, s[4:7], 0 offen lds
	s_mov_b32 m0, s33
	v_add_u32_e32 v71, v82, v70
	buffer_load_dword v70, s[4:7], 0 offen lds
	s_mov_b32 m0, s34
	;; [unrolled: 3-line block ×16, first 2 shown]
	v_mfma_f32_32x32x2f32 v[18:33], v79, v75, v[18:33]
	buffer_load_dword v66, s[12:15], 0 offen lds
	s_mov_b32 m0, s49
	v_add_u32_e32 v105, 0x80, v105
	buffer_load_dword v67, s[12:15], 0 offen lds
	v_mfma_f32_32x32x2f32 v[18:33], v80, v76, v[18:33]
	v_mfma_f32_32x32x2f32 v[50:65], v73, v69, v[50:65]
	v_mfma_f32_32x32x2f32 v[34:49], v73, v77, v[34:49]
	v_mfma_f32_32x32x2f32 v[2:17], v81, v69, v[2:17]
	v_mfma_f32_32x32x2f32 v[18:33], v81, v77, v[18:33]
	s_cbranch_scc1 .LBB1_1
; %bb.2:
	;;#ASMSTART
	    s_waitcnt vmcnt(0) 
     s_waitcnt lgkmcnt(0) 
     s_barrier     
	;;#ASMEND
	s_waitcnt vmcnt(0)
	ds_read_b128 v[66:69], v96
	ds_read_b128 v[70:73], v103 offset:16384
	ds_read_b128 v[74:77], v96 offset:16
	;; [unrolled: 1-line block ×8, first 2 shown]
	s_waitcnt lgkmcnt(7)
	v_mfma_f32_32x32x2f32 v[50:65], v66, v70, v[50:65]
	v_cmp_gt_u32_e32 vcc, 64, v0
	s_waitcnt lgkmcnt(0)
	v_mfma_f32_32x32x2f32 v[34:49], v66, v108, v[34:49]
	v_mfma_f32_32x32x2f32 v[50:65], v67, v71, v[50:65]
	v_mfma_f32_32x32x2f32 v[34:49], v67, v109, v[34:49]
	v_mfma_f32_32x32x2f32 v[50:65], v68, v72, v[50:65]
	v_mfma_f32_32x32x2f32 v[34:49], v68, v110, v[34:49]
	v_mfma_f32_32x32x2f32 v[50:65], v69, v73, v[50:65]
	v_mfma_f32_32x32x2f32 v[34:49], v69, v111, v[34:49]
	ds_read_b128 v[66:69], v103 offset:24592
	v_mfma_f32_32x32x2f32 v[50:65], v74, v78, v[50:65]
	s_waitcnt lgkmcnt(0)
	v_mfma_f32_32x32x2f32 v[34:49], v74, v66, v[34:49]
	v_mfma_f32_32x32x2f32 v[50:65], v75, v79, v[50:65]
	v_mfma_f32_32x32x2f32 v[34:49], v75, v67, v[34:49]
	v_mfma_f32_32x32x2f32 v[50:65], v76, v80, v[50:65]
	v_mfma_f32_32x32x2f32 v[34:49], v76, v68, v[34:49]
	v_mfma_f32_32x32x2f32 v[50:65], v77, v81, v[50:65]
	v_mfma_f32_32x32x2f32 v[34:49], v77, v69, v[34:49]
	ds_read_b128 v[74:77], v103 offset:24608
	v_mfma_f32_32x32x2f32 v[50:65], v86, v90, v[50:65]
	;; [unrolled: 10-line block ×3, first 2 shown]
	s_waitcnt lgkmcnt(0)
	v_mfma_f32_32x32x2f32 v[34:49], v98, v86, v[34:49]
	v_mfma_f32_32x32x2f32 v[50:65], v99, v105, v[50:65]
	v_mfma_f32_32x32x2f32 v[34:49], v99, v87, v[34:49]
	v_mfma_f32_32x32x2f32 v[50:65], v100, v106, v[50:65]
	v_mfma_f32_32x32x2f32 v[34:49], v100, v88, v[34:49]
	v_mfma_f32_32x32x2f32 v[50:65], v101, v107, v[50:65]
	v_mfma_f32_32x32x2f32 v[34:49], v101, v89, v[34:49]
	ds_read_b128 v[98:101], v96 offset:8192
	s_waitcnt lgkmcnt(0)
	v_mfma_f32_32x32x2f32 v[2:17], v98, v70, v[2:17]
	v_mfma_f32_32x32x2f32 v[18:33], v98, v108, v[18:33]
	;; [unrolled: 1-line block ×7, first 2 shown]
	ds_read_b128 v[70:73], v96 offset:8208
	v_mfma_f32_32x32x2f32 v[18:33], v101, v111, v[18:33]
	s_waitcnt lgkmcnt(0)
	v_mfma_f32_32x32x2f32 v[2:17], v70, v78, v[2:17]
	v_mfma_f32_32x32x2f32 v[18:33], v70, v66, v[18:33]
	v_mov_b32_e32 v66, 0
	v_mfma_f32_32x32x2f32 v[2:17], v71, v79, v[2:17]
	v_mfma_f32_32x32x2f32 v[18:33], v71, v67, v[18:33]
	;; [unrolled: 1-line block ×4, first 2 shown]
	v_mov_b32_e32 v68, 0
	v_mfma_f32_32x32x2f32 v[2:17], v73, v81, v[2:17]
	ds_read_b128 v[78:81], v96 offset:8224
	v_mfma_f32_32x32x2f32 v[18:33], v73, v69, v[18:33]
	v_lshlrev_b32_e32 v69, 3, v0
	s_waitcnt lgkmcnt(0)
	v_mfma_f32_32x32x2f32 v[2:17], v78, v90, v[2:17]
	v_mfma_f32_32x32x2f32 v[18:33], v78, v74, v[18:33]
	;; [unrolled: 1-line block ×7, first 2 shown]
	ds_read_b128 v[90:93], v96 offset:8240
	v_mfma_f32_32x32x2f32 v[18:33], v81, v77, v[18:33]
	s_waitcnt lgkmcnt(0)
	v_mfma_f32_32x32x2f32 v[2:17], v90, v104, v[2:17]
	v_mfma_f32_32x32x2f32 v[18:33], v90, v86, v[18:33]
	;; [unrolled: 1-line block ×8, first 2 shown]
	s_and_saveexec_b64 s[2:3], vcc
; %bb.3:
	v_and_b32_e32 v66, 56, v69
	v_and_b32_e32 v0, 56, v0
	v_lshl_or_b32 v68, v0, 6, v66
	v_or_b32_e32 v67, s10, v0
	v_or_b32_e32 v0, s11, v66
	v_mad_u64_u32 v[66:67], s[4:5], v67, s9, v[0:1]
; %bb.4:
	s_or_b64 exec, exec, s[2:3]
	v_and_b32_e32 v67, 0x100, v69
	s_movk_i32 s2, 0x800
	v_and_b32_e32 v0, 32, v84
	v_and_or_b32 v67, v85, s2, v67
	v_or3_b32 v0, v67, v0, v1
	v_lshlrev_b32_e32 v1, 2, v0
	v_lshlrev_b32_e32 v0, 2, v68
	s_mul_i32 s6, s9, -7
	s_waitcnt lgkmcnt(0)
	s_barrier
	ds_write2st64_b32 v1, v50, v51 offset1:1
	ds_write2st64_b32 v1, v52, v53 offset0:2 offset1:3
	ds_write2st64_b32 v1, v56, v57 offset0:10 offset1:11
	;; [unrolled: 1-line block ×7, first 2 shown]
	s_waitcnt lgkmcnt(0)
	s_barrier
	s_and_saveexec_b64 s[4:5], vcc
	s_cbranch_execz .LBB1_6
; %bb.5:
	ds_read_b128 v[50:53], v0
	ds_read_b128 v[54:57], v0 offset:16
	s_lshl_b32 s2, s8, 2
	s_mov_b32 s3, 0x20000
	v_lshlrev_b32_e32 v58, 2, v66
	s_waitcnt lgkmcnt(1)
	buffer_store_dwordx4 v[50:53], v58, s[0:3], 0 offen
	v_add_u32_e32 v58, 4, v66
	ds_read_b128 v[50:53], v0 offset:272
	v_lshlrev_b32_e32 v59, 2, v58
	s_waitcnt lgkmcnt(1)
	buffer_store_dwordx4 v[54:57], v59, s[0:3], 0 offen
	ds_read_b128 v[54:57], v0 offset:256
	v_add_lshl_u32 v58, v58, s9, 2
	s_waitcnt lgkmcnt(1)
	buffer_store_dwordx4 v[50:53], v58, s[0:3], 0 offen
	v_add_u32_e32 v58, s9, v66
	ds_read_b128 v[50:53], v0 offset:512
	v_lshlrev_b32_e32 v59, 2, v58
	s_waitcnt lgkmcnt(1)
	buffer_store_dwordx4 v[54:57], v59, s[0:3], 0 offen
	ds_read_b128 v[54:57], v0 offset:528
	v_add_u32_e32 v58, s9, v58
	v_lshlrev_b32_e32 v59, 2, v58
	s_waitcnt lgkmcnt(1)
	buffer_store_dwordx4 v[50:53], v59, s[0:3], 0 offen
	v_add_u32_e32 v59, 4, v58
	ds_read_b128 v[50:53], v0 offset:784
	v_lshlrev_b32_e32 v60, 2, v59
	s_waitcnt lgkmcnt(1)
	buffer_store_dwordx4 v[54:57], v60, s[0:3], 0 offen
	ds_read_b128 v[54:57], v0 offset:768
	v_add_lshl_u32 v59, v59, s9, 2
	s_waitcnt lgkmcnt(1)
	buffer_store_dwordx4 v[50:53], v59, s[0:3], 0 offen
	v_add_u32_e32 v58, s9, v58
	ds_read_b128 v[50:53], v0 offset:1024
	v_lshlrev_b32_e32 v59, 2, v58
	s_waitcnt lgkmcnt(1)
	buffer_store_dwordx4 v[54:57], v59, s[0:3], 0 offen
	ds_read_b128 v[54:57], v0 offset:1040
	v_add_u32_e32 v58, s9, v58
	;; [unrolled: 19-line block ×3, first 2 shown]
	v_lshlrev_b32_e32 v59, 2, v58
	s_waitcnt lgkmcnt(1)
	buffer_store_dwordx4 v[50:53], v59, s[0:3], 0 offen
	v_add_u32_e32 v59, 4, v58
	ds_read_b128 v[50:53], v0 offset:1808
	v_lshlrev_b32_e32 v60, 2, v59
	s_waitcnt lgkmcnt(1)
	buffer_store_dwordx4 v[54:57], v60, s[0:3], 0 offen
	ds_read_b128 v[54:57], v0 offset:1792
	v_add_lshl_u32 v59, v59, s9, 2
	s_waitcnt lgkmcnt(1)
	buffer_store_dwordx4 v[50:53], v59, s[0:3], 0 offen
	s_nop 0
	v_add_u32_e32 v50, s9, v58
	v_lshlrev_b32_e32 v51, 2, v50
	v_add3_u32 v66, s6, 64, v50
	s_waitcnt lgkmcnt(0)
	buffer_store_dwordx4 v[54:57], v51, s[0:3], 0 offen
.LBB1_6:
	s_or_b64 exec, exec, s[4:5]
	s_waitcnt lgkmcnt(0)
	s_barrier
	ds_write2st64_b32 v1, v34, v35 offset1:1
	ds_write2st64_b32 v1, v36, v37 offset0:2 offset1:3
	ds_write2st64_b32 v1, v40, v41 offset0:10 offset1:11
	;; [unrolled: 1-line block ×7, first 2 shown]
	s_waitcnt lgkmcnt(0)
	s_barrier
	s_and_saveexec_b64 s[4:5], vcc
	s_cbranch_execz .LBB1_8
; %bb.7:
	ds_read_b128 v[34:37], v0
	ds_read_b128 v[38:41], v0 offset:16
	s_lshl_b32 s2, s8, 2
	s_mov_b32 s3, 0x20000
	v_lshlrev_b32_e32 v42, 2, v66
	s_waitcnt lgkmcnt(1)
	buffer_store_dwordx4 v[34:37], v42, s[0:3], 0 offen
	v_add_u32_e32 v42, 4, v66
	ds_read_b128 v[34:37], v0 offset:272
	v_lshlrev_b32_e32 v43, 2, v42
	s_waitcnt lgkmcnt(1)
	buffer_store_dwordx4 v[38:41], v43, s[0:3], 0 offen
	ds_read_b128 v[38:41], v0 offset:256
	v_add_lshl_u32 v42, v42, s9, 2
	s_waitcnt lgkmcnt(1)
	buffer_store_dwordx4 v[34:37], v42, s[0:3], 0 offen
	v_add_u32_e32 v42, s9, v66
	ds_read_b128 v[34:37], v0 offset:512
	v_lshlrev_b32_e32 v43, 2, v42
	s_waitcnt lgkmcnt(1)
	buffer_store_dwordx4 v[38:41], v43, s[0:3], 0 offen
	ds_read_b128 v[38:41], v0 offset:528
	v_add_u32_e32 v42, s9, v42
	v_lshlrev_b32_e32 v43, 2, v42
	s_waitcnt lgkmcnt(1)
	buffer_store_dwordx4 v[34:37], v43, s[0:3], 0 offen
	v_add_u32_e32 v43, 4, v42
	ds_read_b128 v[34:37], v0 offset:784
	v_lshlrev_b32_e32 v44, 2, v43
	s_waitcnt lgkmcnt(1)
	buffer_store_dwordx4 v[38:41], v44, s[0:3], 0 offen
	ds_read_b128 v[38:41], v0 offset:768
	v_add_lshl_u32 v43, v43, s9, 2
	s_waitcnt lgkmcnt(1)
	buffer_store_dwordx4 v[34:37], v43, s[0:3], 0 offen
	v_add_u32_e32 v42, s9, v42
	ds_read_b128 v[34:37], v0 offset:1024
	v_lshlrev_b32_e32 v43, 2, v42
	s_waitcnt lgkmcnt(1)
	buffer_store_dwordx4 v[38:41], v43, s[0:3], 0 offen
	ds_read_b128 v[38:41], v0 offset:1040
	v_add_u32_e32 v42, s9, v42
	;; [unrolled: 19-line block ×3, first 2 shown]
	v_lshlrev_b32_e32 v43, 2, v42
	s_waitcnt lgkmcnt(1)
	buffer_store_dwordx4 v[34:37], v43, s[0:3], 0 offen
	v_add_u32_e32 v43, 4, v42
	ds_read_b128 v[34:37], v0 offset:1808
	v_lshlrev_b32_e32 v44, 2, v43
	s_waitcnt lgkmcnt(1)
	buffer_store_dwordx4 v[38:41], v44, s[0:3], 0 offen
	ds_read_b128 v[38:41], v0 offset:1792
	v_add_lshl_u32 v43, v43, s9, 2
	s_waitcnt lgkmcnt(1)
	buffer_store_dwordx4 v[34:37], v43, s[0:3], 0 offen
	s_nop 0
	v_add_u32_e32 v34, s9, v42
	v_lshlrev_b32_e32 v35, 2, v34
	s_waitcnt lgkmcnt(0)
	buffer_store_dwordx4 v[38:41], v35, s[0:3], 0 offen
	v_mad_u64_u32 v[66:67], s[2:3], s9, 57, v[34:35]
.LBB1_8:
	s_or_b64 exec, exec, s[4:5]
	s_waitcnt lgkmcnt(0)
	s_barrier
	ds_write2st64_b32 v1, v18, v19 offset1:1
	ds_write2st64_b32 v1, v20, v21 offset0:2 offset1:3
	ds_write2st64_b32 v1, v24, v25 offset0:10 offset1:11
	;; [unrolled: 1-line block ×7, first 2 shown]
	s_waitcnt lgkmcnt(0)
	s_barrier
	s_and_saveexec_b64 s[4:5], vcc
	s_cbranch_execz .LBB1_10
; %bb.9:
	ds_read_b128 v[18:21], v0
	ds_read_b128 v[22:25], v0 offset:16
	s_lshl_b32 s2, s8, 2
	s_mov_b32 s3, 0x20000
	v_lshlrev_b32_e32 v26, 2, v66
	s_waitcnt lgkmcnt(1)
	buffer_store_dwordx4 v[18:21], v26, s[0:3], 0 offen
	v_add_u32_e32 v26, 4, v66
	ds_read_b128 v[18:21], v0 offset:272
	v_lshlrev_b32_e32 v27, 2, v26
	s_waitcnt lgkmcnt(1)
	buffer_store_dwordx4 v[22:25], v27, s[0:3], 0 offen
	ds_read_b128 v[22:25], v0 offset:256
	v_add_lshl_u32 v26, v26, s9, 2
	s_waitcnt lgkmcnt(1)
	buffer_store_dwordx4 v[18:21], v26, s[0:3], 0 offen
	v_add_u32_e32 v26, s9, v66
	ds_read_b128 v[18:21], v0 offset:512
	v_lshlrev_b32_e32 v27, 2, v26
	s_waitcnt lgkmcnt(1)
	buffer_store_dwordx4 v[22:25], v27, s[0:3], 0 offen
	ds_read_b128 v[22:25], v0 offset:528
	v_add_u32_e32 v26, s9, v26
	v_lshlrev_b32_e32 v27, 2, v26
	s_waitcnt lgkmcnt(1)
	buffer_store_dwordx4 v[18:21], v27, s[0:3], 0 offen
	v_add_u32_e32 v27, 4, v26
	ds_read_b128 v[18:21], v0 offset:784
	v_lshlrev_b32_e32 v28, 2, v27
	s_waitcnt lgkmcnt(1)
	buffer_store_dwordx4 v[22:25], v28, s[0:3], 0 offen
	ds_read_b128 v[22:25], v0 offset:768
	v_add_lshl_u32 v27, v27, s9, 2
	s_waitcnt lgkmcnt(1)
	buffer_store_dwordx4 v[18:21], v27, s[0:3], 0 offen
	v_add_u32_e32 v26, s9, v26
	ds_read_b128 v[18:21], v0 offset:1024
	v_lshlrev_b32_e32 v27, 2, v26
	s_waitcnt lgkmcnt(1)
	buffer_store_dwordx4 v[22:25], v27, s[0:3], 0 offen
	ds_read_b128 v[22:25], v0 offset:1040
	v_add_u32_e32 v26, s9, v26
	;; [unrolled: 19-line block ×3, first 2 shown]
	v_lshlrev_b32_e32 v27, 2, v26
	s_waitcnt lgkmcnt(1)
	buffer_store_dwordx4 v[18:21], v27, s[0:3], 0 offen
	v_add_u32_e32 v27, 4, v26
	ds_read_b128 v[18:21], v0 offset:1808
	v_lshlrev_b32_e32 v28, 2, v27
	s_waitcnt lgkmcnt(1)
	buffer_store_dwordx4 v[22:25], v28, s[0:3], 0 offen
	ds_read_b128 v[22:25], v0 offset:1792
	v_add_lshl_u32 v27, v27, s9, 2
	s_waitcnt lgkmcnt(1)
	buffer_store_dwordx4 v[18:21], v27, s[0:3], 0 offen
	s_nop 0
	v_add_u32_e32 v18, s9, v26
	v_lshlrev_b32_e32 v19, 2, v18
	s_waitcnt lgkmcnt(0)
	buffer_store_dwordx4 v[22:25], v19, s[0:3], 0 offen
	s_sub_i32 s2, s6, 64
	v_add_u32_e32 v66, s2, v18
.LBB1_10:
	s_or_b64 exec, exec, s[4:5]
	s_waitcnt lgkmcnt(0)
	s_barrier
	ds_write2st64_b32 v1, v2, v3 offset1:1
	ds_write2st64_b32 v1, v4, v5 offset0:2 offset1:3
	ds_write2st64_b32 v1, v8, v9 offset0:10 offset1:11
	;; [unrolled: 1-line block ×7, first 2 shown]
	s_waitcnt lgkmcnt(0)
	s_barrier
	s_and_saveexec_b64 s[2:3], vcc
	s_cbranch_execz .LBB1_12
; %bb.11:
	ds_read_b128 v[2:5], v0
	ds_read_b128 v[6:9], v0 offset:16
	s_lshl_b32 s2, s8, 2
	s_mov_b32 s3, 0x20000
	v_lshlrev_b32_e32 v1, 2, v66
	s_waitcnt lgkmcnt(1)
	buffer_store_dwordx4 v[2:5], v1, s[0:3], 0 offen
	ds_read_b128 v[2:5], v0 offset:272
	v_add_u32_e32 v1, 4, v66
	v_lshlrev_b32_e32 v10, 2, v1
	s_waitcnt lgkmcnt(1)
	buffer_store_dwordx4 v[6:9], v10, s[0:3], 0 offen
	ds_read_b128 v[6:9], v0 offset:256
	v_add_lshl_u32 v1, v1, s9, 2
	s_waitcnt lgkmcnt(1)
	buffer_store_dwordx4 v[2:5], v1, s[0:3], 0 offen
	ds_read_b128 v[2:5], v0 offset:512
	v_add_u32_e32 v1, s9, v66
	v_lshlrev_b32_e32 v10, 2, v1
	v_add_u32_e32 v1, s9, v1
	s_waitcnt lgkmcnt(1)
	buffer_store_dwordx4 v[6:9], v10, s[0:3], 0 offen
	ds_read_b128 v[6:9], v0 offset:528
	v_lshlrev_b32_e32 v10, 2, v1
	s_waitcnt lgkmcnt(1)
	buffer_store_dwordx4 v[2:5], v10, s[0:3], 0 offen
	ds_read_b128 v[2:5], v0 offset:784
	v_add_u32_e32 v10, 4, v1
	v_lshlrev_b32_e32 v11, 2, v10
	s_waitcnt lgkmcnt(1)
	buffer_store_dwordx4 v[6:9], v11, s[0:3], 0 offen
	ds_read_b128 v[6:9], v0 offset:768
	v_add_lshl_u32 v10, v10, s9, 2
	s_waitcnt lgkmcnt(1)
	buffer_store_dwordx4 v[2:5], v10, s[0:3], 0 offen
	ds_read_b128 v[2:5], v0 offset:1024
	v_add_u32_e32 v1, s9, v1
	v_lshlrev_b32_e32 v10, 2, v1
	v_add_u32_e32 v1, s9, v1
	s_waitcnt lgkmcnt(1)
	buffer_store_dwordx4 v[6:9], v10, s[0:3], 0 offen
	ds_read_b128 v[6:9], v0 offset:1040
	;; [unrolled: 19-line block ×3, first 2 shown]
	v_lshlrev_b32_e32 v10, 2, v1
	s_waitcnt lgkmcnt(1)
	buffer_store_dwordx4 v[2:5], v10, s[0:3], 0 offen
	ds_read_b128 v[2:5], v0 offset:1808
	ds_read_b128 v[10:13], v0 offset:1792
	v_add_u32_e32 v14, 4, v1
	v_lshlrev_b32_e32 v15, 2, v14
	v_add_lshl_u32 v0, v14, s9, 2
	s_waitcnt lgkmcnt(2)
	buffer_store_dwordx4 v[6:9], v15, s[0:3], 0 offen
	s_waitcnt lgkmcnt(1)
	buffer_store_dwordx4 v[2:5], v0, s[0:3], 0 offen
	v_add_lshl_u32 v0, v1, s9, 2
	s_waitcnt lgkmcnt(0)
	buffer_store_dwordx4 v[10:13], v0, s[0:3], 0 offen
.LBB1_12:
	s_endpgm
	.section	.rodata,"a",@progbits
	.p2align	6, 0x0
	.amdhsa_kernel _ZN2ck51kernel_gemm_multiple_d_xdl_cshuffle_lds_direct_loadINS_48GridwiseGemmMultipleD_Xdl_CShuffle_LdsDirectLoadINS_13tensor_layout4gemm8RowMajorENS3_11ColumnMajorENS_5TupleIJEEES4_ffDB19_ffS7_fNS_16tensor_operation12element_wise11PassThroughESB_SB_LNS_25InMemoryDataOperationEnumE0ELNS9_6device18GemmSpecializationE0ELi1ELi256ELi128ELi128ELi32ELi8ELi8ELi32ELi32ELi2ELi2ENS_8SequenceIJLi4ELi8ELi8EEEENSF_IJLi1ELi0ELi2EEEELi2ELi1ELi1ESG_SH_Li2ELi1ELi1ELi1ELi1ENSF_IJLi1ELi8ELi1ELi8EEEELi4ELNS_13LoopSchedulerE0ELNS_15PipelineVersionE2ES8_EEffS7_fSB_SB_SB_NS_16TensorDescriptorINS6_IJNS_5EmbedINS6_IJiiEEENS6_IJiNS_17integral_constantIiLi1EEEEEELb0EEENS_11PassThroughIiEESU_NS_7UnMergeINS6_IJiNSP_IiLi8EEEEEELb0EEESU_EEENS6_IJNSF_IJLi0EEEENSF_IJLi1EEEENSF_IJLi2EEEENSF_IJLi4EEEENSF_IJLi3EEEEEEENS6_IJNSF_IJLi1ELi2EEEES14_S13_NSF_IJLi5ELi6EEEENSF_IJLi7EEEEEEENSF_IJLi5ELi7ELi6EEEElEES1B_S7_NSM_INS6_IJSS_SU_SU_NSV_INS6_IJiNSP_IiLi128EEEEEELb0EEES1E_EEENS6_IJS10_S11_S12_S14_S13_EEENS6_IJS16_S14_S13_S17_NSF_IJLi7ELi8EEEEEEENSF_IJLi5ELi6ELi7ELi8EEEElEENS_31BlockToCTileMap_M00_N0_M01AdaptILi128ELi128ENSM_INS6_IJSS_SU_SU_EEENS6_IJS10_S11_S12_EEENS6_IJS16_S14_S13_EEENSF_IJLi3ELi4EEEElEEiEELb1ELi2EEEvPKT0_PKT1_T2_PT3_T4_T5_T6_T7_T8_T9_T10_T11_
		.amdhsa_group_segment_fixed_size 32768
		.amdhsa_private_segment_fixed_size 0
		.amdhsa_kernarg_size 236
		.amdhsa_user_sgpr_count 6
		.amdhsa_user_sgpr_private_segment_buffer 1
		.amdhsa_user_sgpr_dispatch_ptr 0
		.amdhsa_user_sgpr_queue_ptr 0
		.amdhsa_user_sgpr_kernarg_segment_ptr 1
		.amdhsa_user_sgpr_dispatch_id 0
		.amdhsa_user_sgpr_flat_scratch_init 0
		.amdhsa_user_sgpr_kernarg_preload_length 0
		.amdhsa_user_sgpr_kernarg_preload_offset 0
		.amdhsa_user_sgpr_private_segment_size 0
		.amdhsa_uses_dynamic_stack 0
		.amdhsa_system_sgpr_private_segment_wavefront_offset 0
		.amdhsa_system_sgpr_workgroup_id_x 1
		.amdhsa_system_sgpr_workgroup_id_y 0
		.amdhsa_system_sgpr_workgroup_id_z 0
		.amdhsa_system_sgpr_workgroup_info 0
		.amdhsa_system_vgpr_workitem_id 0
		.amdhsa_next_free_vgpr 116
		.amdhsa_next_free_sgpr 50
		.amdhsa_accum_offset 116
		.amdhsa_reserve_vcc 1
		.amdhsa_reserve_flat_scratch 0
		.amdhsa_float_round_mode_32 0
		.amdhsa_float_round_mode_16_64 0
		.amdhsa_float_denorm_mode_32 3
		.amdhsa_float_denorm_mode_16_64 3
		.amdhsa_dx10_clamp 1
		.amdhsa_ieee_mode 1
		.amdhsa_fp16_overflow 0
		.amdhsa_tg_split 0
		.amdhsa_exception_fp_ieee_invalid_op 0
		.amdhsa_exception_fp_denorm_src 0
		.amdhsa_exception_fp_ieee_div_zero 0
		.amdhsa_exception_fp_ieee_overflow 0
		.amdhsa_exception_fp_ieee_underflow 0
		.amdhsa_exception_fp_ieee_inexact 0
		.amdhsa_exception_int_div_zero 0
	.end_amdhsa_kernel
	.section	.text._ZN2ck51kernel_gemm_multiple_d_xdl_cshuffle_lds_direct_loadINS_48GridwiseGemmMultipleD_Xdl_CShuffle_LdsDirectLoadINS_13tensor_layout4gemm8RowMajorENS3_11ColumnMajorENS_5TupleIJEEES4_ffDB19_ffS7_fNS_16tensor_operation12element_wise11PassThroughESB_SB_LNS_25InMemoryDataOperationEnumE0ELNS9_6device18GemmSpecializationE0ELi1ELi256ELi128ELi128ELi32ELi8ELi8ELi32ELi32ELi2ELi2ENS_8SequenceIJLi4ELi8ELi8EEEENSF_IJLi1ELi0ELi2EEEELi2ELi1ELi1ESG_SH_Li2ELi1ELi1ELi1ELi1ENSF_IJLi1ELi8ELi1ELi8EEEELi4ELNS_13LoopSchedulerE0ELNS_15PipelineVersionE2ES8_EEffS7_fSB_SB_SB_NS_16TensorDescriptorINS6_IJNS_5EmbedINS6_IJiiEEENS6_IJiNS_17integral_constantIiLi1EEEEEELb0EEENS_11PassThroughIiEESU_NS_7UnMergeINS6_IJiNSP_IiLi8EEEEEELb0EEESU_EEENS6_IJNSF_IJLi0EEEENSF_IJLi1EEEENSF_IJLi2EEEENSF_IJLi4EEEENSF_IJLi3EEEEEEENS6_IJNSF_IJLi1ELi2EEEES14_S13_NSF_IJLi5ELi6EEEENSF_IJLi7EEEEEEENSF_IJLi5ELi7ELi6EEEElEES1B_S7_NSM_INS6_IJSS_SU_SU_NSV_INS6_IJiNSP_IiLi128EEEEEELb0EEES1E_EEENS6_IJS10_S11_S12_S14_S13_EEENS6_IJS16_S14_S13_S17_NSF_IJLi7ELi8EEEEEEENSF_IJLi5ELi6ELi7ELi8EEEElEENS_31BlockToCTileMap_M00_N0_M01AdaptILi128ELi128ENSM_INS6_IJSS_SU_SU_EEENS6_IJS10_S11_S12_EEENS6_IJS16_S14_S13_EEENSF_IJLi3ELi4EEEElEEiEELb1ELi2EEEvPKT0_PKT1_T2_PT3_T4_T5_T6_T7_T8_T9_T10_T11_,"axG",@progbits,_ZN2ck51kernel_gemm_multiple_d_xdl_cshuffle_lds_direct_loadINS_48GridwiseGemmMultipleD_Xdl_CShuffle_LdsDirectLoadINS_13tensor_layout4gemm8RowMajorENS3_11ColumnMajorENS_5TupleIJEEES4_ffDB19_ffS7_fNS_16tensor_operation12element_wise11PassThroughESB_SB_LNS_25InMemoryDataOperationEnumE0ELNS9_6device18GemmSpecializationE0ELi1ELi256ELi128ELi128ELi32ELi8ELi8ELi32ELi32ELi2ELi2ENS_8SequenceIJLi4ELi8ELi8EEEENSF_IJLi1ELi0ELi2EEEELi2ELi1ELi1ESG_SH_Li2ELi1ELi1ELi1ELi1ENSF_IJLi1ELi8ELi1ELi8EEEELi4ELNS_13LoopSchedulerE0ELNS_15PipelineVersionE2ES8_EEffS7_fSB_SB_SB_NS_16TensorDescriptorINS6_IJNS_5EmbedINS6_IJiiEEENS6_IJiNS_17integral_constantIiLi1EEEEEELb0EEENS_11PassThroughIiEESU_NS_7UnMergeINS6_IJiNSP_IiLi8EEEEEELb0EEESU_EEENS6_IJNSF_IJLi0EEEENSF_IJLi1EEEENSF_IJLi2EEEENSF_IJLi4EEEENSF_IJLi3EEEEEEENS6_IJNSF_IJLi1ELi2EEEES14_S13_NSF_IJLi5ELi6EEEENSF_IJLi7EEEEEEENSF_IJLi5ELi7ELi6EEEElEES1B_S7_NSM_INS6_IJSS_SU_SU_NSV_INS6_IJiNSP_IiLi128EEEEEELb0EEES1E_EEENS6_IJS10_S11_S12_S14_S13_EEENS6_IJS16_S14_S13_S17_NSF_IJLi7ELi8EEEEEEENSF_IJLi5ELi6ELi7ELi8EEEElEENS_31BlockToCTileMap_M00_N0_M01AdaptILi128ELi128ENSM_INS6_IJSS_SU_SU_EEENS6_IJS10_S11_S12_EEENS6_IJS16_S14_S13_EEENSF_IJLi3ELi4EEEElEEiEELb1ELi2EEEvPKT0_PKT1_T2_PT3_T4_T5_T6_T7_T8_T9_T10_T11_,comdat
.Lfunc_end1:
	.size	_ZN2ck51kernel_gemm_multiple_d_xdl_cshuffle_lds_direct_loadINS_48GridwiseGemmMultipleD_Xdl_CShuffle_LdsDirectLoadINS_13tensor_layout4gemm8RowMajorENS3_11ColumnMajorENS_5TupleIJEEES4_ffDB19_ffS7_fNS_16tensor_operation12element_wise11PassThroughESB_SB_LNS_25InMemoryDataOperationEnumE0ELNS9_6device18GemmSpecializationE0ELi1ELi256ELi128ELi128ELi32ELi8ELi8ELi32ELi32ELi2ELi2ENS_8SequenceIJLi4ELi8ELi8EEEENSF_IJLi1ELi0ELi2EEEELi2ELi1ELi1ESG_SH_Li2ELi1ELi1ELi1ELi1ENSF_IJLi1ELi8ELi1ELi8EEEELi4ELNS_13LoopSchedulerE0ELNS_15PipelineVersionE2ES8_EEffS7_fSB_SB_SB_NS_16TensorDescriptorINS6_IJNS_5EmbedINS6_IJiiEEENS6_IJiNS_17integral_constantIiLi1EEEEEELb0EEENS_11PassThroughIiEESU_NS_7UnMergeINS6_IJiNSP_IiLi8EEEEEELb0EEESU_EEENS6_IJNSF_IJLi0EEEENSF_IJLi1EEEENSF_IJLi2EEEENSF_IJLi4EEEENSF_IJLi3EEEEEEENS6_IJNSF_IJLi1ELi2EEEES14_S13_NSF_IJLi5ELi6EEEENSF_IJLi7EEEEEEENSF_IJLi5ELi7ELi6EEEElEES1B_S7_NSM_INS6_IJSS_SU_SU_NSV_INS6_IJiNSP_IiLi128EEEEEELb0EEES1E_EEENS6_IJS10_S11_S12_S14_S13_EEENS6_IJS16_S14_S13_S17_NSF_IJLi7ELi8EEEEEEENSF_IJLi5ELi6ELi7ELi8EEEElEENS_31BlockToCTileMap_M00_N0_M01AdaptILi128ELi128ENSM_INS6_IJSS_SU_SU_EEENS6_IJS10_S11_S12_EEENS6_IJS16_S14_S13_EEENSF_IJLi3ELi4EEEElEEiEELb1ELi2EEEvPKT0_PKT1_T2_PT3_T4_T5_T6_T7_T8_T9_T10_T11_, .Lfunc_end1-_ZN2ck51kernel_gemm_multiple_d_xdl_cshuffle_lds_direct_loadINS_48GridwiseGemmMultipleD_Xdl_CShuffle_LdsDirectLoadINS_13tensor_layout4gemm8RowMajorENS3_11ColumnMajorENS_5TupleIJEEES4_ffDB19_ffS7_fNS_16tensor_operation12element_wise11PassThroughESB_SB_LNS_25InMemoryDataOperationEnumE0ELNS9_6device18GemmSpecializationE0ELi1ELi256ELi128ELi128ELi32ELi8ELi8ELi32ELi32ELi2ELi2ENS_8SequenceIJLi4ELi8ELi8EEEENSF_IJLi1ELi0ELi2EEEELi2ELi1ELi1ESG_SH_Li2ELi1ELi1ELi1ELi1ENSF_IJLi1ELi8ELi1ELi8EEEELi4ELNS_13LoopSchedulerE0ELNS_15PipelineVersionE2ES8_EEffS7_fSB_SB_SB_NS_16TensorDescriptorINS6_IJNS_5EmbedINS6_IJiiEEENS6_IJiNS_17integral_constantIiLi1EEEEEELb0EEENS_11PassThroughIiEESU_NS_7UnMergeINS6_IJiNSP_IiLi8EEEEEELb0EEESU_EEENS6_IJNSF_IJLi0EEEENSF_IJLi1EEEENSF_IJLi2EEEENSF_IJLi4EEEENSF_IJLi3EEEEEEENS6_IJNSF_IJLi1ELi2EEEES14_S13_NSF_IJLi5ELi6EEEENSF_IJLi7EEEEEEENSF_IJLi5ELi7ELi6EEEElEES1B_S7_NSM_INS6_IJSS_SU_SU_NSV_INS6_IJiNSP_IiLi128EEEEEELb0EEES1E_EEENS6_IJS10_S11_S12_S14_S13_EEENS6_IJS16_S14_S13_S17_NSF_IJLi7ELi8EEEEEEENSF_IJLi5ELi6ELi7ELi8EEEElEENS_31BlockToCTileMap_M00_N0_M01AdaptILi128ELi128ENSM_INS6_IJSS_SU_SU_EEENS6_IJS10_S11_S12_EEENS6_IJS16_S14_S13_EEENSF_IJLi3ELi4EEEElEEiEELb1ELi2EEEvPKT0_PKT1_T2_PT3_T4_T5_T6_T7_T8_T9_T10_T11_
                                        ; -- End function
	.section	.AMDGPU.csdata,"",@progbits
; Kernel info:
; codeLenInByte = 6612
; NumSgprs: 54
; NumVgprs: 116
; NumAgprs: 0
; TotalNumVgprs: 116
; ScratchSize: 0
; MemoryBound: 0
; FloatMode: 240
; IeeeMode: 1
; LDSByteSize: 32768 bytes/workgroup (compile time only)
; SGPRBlocks: 6
; VGPRBlocks: 14
; NumSGPRsForWavesPerEU: 54
; NumVGPRsForWavesPerEU: 116
; AccumOffset: 116
; Occupancy: 2
; WaveLimiterHint : 0
; COMPUTE_PGM_RSRC2:SCRATCH_EN: 0
; COMPUTE_PGM_RSRC2:USER_SGPR: 6
; COMPUTE_PGM_RSRC2:TRAP_HANDLER: 0
; COMPUTE_PGM_RSRC2:TGID_X_EN: 1
; COMPUTE_PGM_RSRC2:TGID_Y_EN: 0
; COMPUTE_PGM_RSRC2:TGID_Z_EN: 0
; COMPUTE_PGM_RSRC2:TIDIG_COMP_CNT: 0
; COMPUTE_PGM_RSRC3_GFX90A:ACCUM_OFFSET: 28
; COMPUTE_PGM_RSRC3_GFX90A:TG_SPLIT: 0
	.section	.text._ZN2ck51kernel_gemm_multiple_d_xdl_cshuffle_lds_direct_loadINS_48GridwiseGemmMultipleD_Xdl_CShuffle_LdsDirectLoadINS_13tensor_layout4gemm8RowMajorENS3_11ColumnMajorENS_5TupleIJEEES4_ffDB19_ffS7_fNS_16tensor_operation12element_wise11PassThroughESB_SB_LNS_25InMemoryDataOperationEnumE0ELNS9_6device18GemmSpecializationE0ELi1ELi256ELi128ELi128ELi32ELi8ELi8ELi32ELi32ELi2ELi2ENS_8SequenceIJLi4ELi8ELi8EEEENSF_IJLi1ELi0ELi2EEEELi2ELi1ELi1ESG_SH_Li2ELi1ELi1ELi1ELi1ENSF_IJLi1ELi8ELi1ELi8EEEELi4ELNS_13LoopSchedulerE0ELNS_15PipelineVersionE2ES8_EEffS7_fSB_SB_SB_NS_16TensorDescriptorINS6_IJNS_5EmbedINS6_IJiiEEENS6_IJiNS_17integral_constantIiLi1EEEEEELb0EEENS_11PassThroughIiEESU_NS_7UnMergeINS6_IJiNSP_IiLi8EEEEEELb0EEESU_EEENS6_IJNSF_IJLi0EEEENSF_IJLi1EEEENSF_IJLi2EEEENSF_IJLi4EEEENSF_IJLi3EEEEEEENS6_IJNSF_IJLi1ELi2EEEES14_S13_NSF_IJLi5ELi6EEEENSF_IJLi7EEEEEEENSF_IJLi5ELi7ELi6EEEElEES1B_S7_NSM_INS6_IJSS_SU_SU_NSV_INS6_IJiNSP_IiLi128EEEEEELb0EEES1E_EEENS6_IJS10_S11_S12_S14_S13_EEENS6_IJS16_S14_S13_S17_NSF_IJLi7ELi8EEEEEEENSF_IJLi5ELi6ELi7ELi8EEEElEENS_31BlockToCTileMap_M00_N0_M01AdaptILi128ELi128ENSM_INS6_IJSS_SU_SU_EEENS6_IJS10_S11_S12_EEENS6_IJS16_S14_S13_EEENSF_IJLi3ELi4EEEElEEiEELb0ELi2EEEvPKT0_PKT1_T2_PT3_T4_T5_T6_T7_T8_T9_T10_T11_,"axG",@progbits,_ZN2ck51kernel_gemm_multiple_d_xdl_cshuffle_lds_direct_loadINS_48GridwiseGemmMultipleD_Xdl_CShuffle_LdsDirectLoadINS_13tensor_layout4gemm8RowMajorENS3_11ColumnMajorENS_5TupleIJEEES4_ffDB19_ffS7_fNS_16tensor_operation12element_wise11PassThroughESB_SB_LNS_25InMemoryDataOperationEnumE0ELNS9_6device18GemmSpecializationE0ELi1ELi256ELi128ELi128ELi32ELi8ELi8ELi32ELi32ELi2ELi2ENS_8SequenceIJLi4ELi8ELi8EEEENSF_IJLi1ELi0ELi2EEEELi2ELi1ELi1ESG_SH_Li2ELi1ELi1ELi1ELi1ENSF_IJLi1ELi8ELi1ELi8EEEELi4ELNS_13LoopSchedulerE0ELNS_15PipelineVersionE2ES8_EEffS7_fSB_SB_SB_NS_16TensorDescriptorINS6_IJNS_5EmbedINS6_IJiiEEENS6_IJiNS_17integral_constantIiLi1EEEEEELb0EEENS_11PassThroughIiEESU_NS_7UnMergeINS6_IJiNSP_IiLi8EEEEEELb0EEESU_EEENS6_IJNSF_IJLi0EEEENSF_IJLi1EEEENSF_IJLi2EEEENSF_IJLi4EEEENSF_IJLi3EEEEEEENS6_IJNSF_IJLi1ELi2EEEES14_S13_NSF_IJLi5ELi6EEEENSF_IJLi7EEEEEEENSF_IJLi5ELi7ELi6EEEElEES1B_S7_NSM_INS6_IJSS_SU_SU_NSV_INS6_IJiNSP_IiLi128EEEEEELb0EEES1E_EEENS6_IJS10_S11_S12_S14_S13_EEENS6_IJS16_S14_S13_S17_NSF_IJLi7ELi8EEEEEEENSF_IJLi5ELi6ELi7ELi8EEEElEENS_31BlockToCTileMap_M00_N0_M01AdaptILi128ELi128ENSM_INS6_IJSS_SU_SU_EEENS6_IJS10_S11_S12_EEENS6_IJS16_S14_S13_EEENSF_IJLi3ELi4EEEElEEiEELb0ELi2EEEvPKT0_PKT1_T2_PT3_T4_T5_T6_T7_T8_T9_T10_T11_,comdat
	.protected	_ZN2ck51kernel_gemm_multiple_d_xdl_cshuffle_lds_direct_loadINS_48GridwiseGemmMultipleD_Xdl_CShuffle_LdsDirectLoadINS_13tensor_layout4gemm8RowMajorENS3_11ColumnMajorENS_5TupleIJEEES4_ffDB19_ffS7_fNS_16tensor_operation12element_wise11PassThroughESB_SB_LNS_25InMemoryDataOperationEnumE0ELNS9_6device18GemmSpecializationE0ELi1ELi256ELi128ELi128ELi32ELi8ELi8ELi32ELi32ELi2ELi2ENS_8SequenceIJLi4ELi8ELi8EEEENSF_IJLi1ELi0ELi2EEEELi2ELi1ELi1ESG_SH_Li2ELi1ELi1ELi1ELi1ENSF_IJLi1ELi8ELi1ELi8EEEELi4ELNS_13LoopSchedulerE0ELNS_15PipelineVersionE2ES8_EEffS7_fSB_SB_SB_NS_16TensorDescriptorINS6_IJNS_5EmbedINS6_IJiiEEENS6_IJiNS_17integral_constantIiLi1EEEEEELb0EEENS_11PassThroughIiEESU_NS_7UnMergeINS6_IJiNSP_IiLi8EEEEEELb0EEESU_EEENS6_IJNSF_IJLi0EEEENSF_IJLi1EEEENSF_IJLi2EEEENSF_IJLi4EEEENSF_IJLi3EEEEEEENS6_IJNSF_IJLi1ELi2EEEES14_S13_NSF_IJLi5ELi6EEEENSF_IJLi7EEEEEEENSF_IJLi5ELi7ELi6EEEElEES1B_S7_NSM_INS6_IJSS_SU_SU_NSV_INS6_IJiNSP_IiLi128EEEEEELb0EEES1E_EEENS6_IJS10_S11_S12_S14_S13_EEENS6_IJS16_S14_S13_S17_NSF_IJLi7ELi8EEEEEEENSF_IJLi5ELi6ELi7ELi8EEEElEENS_31BlockToCTileMap_M00_N0_M01AdaptILi128ELi128ENSM_INS6_IJSS_SU_SU_EEENS6_IJS10_S11_S12_EEENS6_IJS16_S14_S13_EEENSF_IJLi3ELi4EEEElEEiEELb0ELi2EEEvPKT0_PKT1_T2_PT3_T4_T5_T6_T7_T8_T9_T10_T11_ ; -- Begin function _ZN2ck51kernel_gemm_multiple_d_xdl_cshuffle_lds_direct_loadINS_48GridwiseGemmMultipleD_Xdl_CShuffle_LdsDirectLoadINS_13tensor_layout4gemm8RowMajorENS3_11ColumnMajorENS_5TupleIJEEES4_ffDB19_ffS7_fNS_16tensor_operation12element_wise11PassThroughESB_SB_LNS_25InMemoryDataOperationEnumE0ELNS9_6device18GemmSpecializationE0ELi1ELi256ELi128ELi128ELi32ELi8ELi8ELi32ELi32ELi2ELi2ENS_8SequenceIJLi4ELi8ELi8EEEENSF_IJLi1ELi0ELi2EEEELi2ELi1ELi1ESG_SH_Li2ELi1ELi1ELi1ELi1ENSF_IJLi1ELi8ELi1ELi8EEEELi4ELNS_13LoopSchedulerE0ELNS_15PipelineVersionE2ES8_EEffS7_fSB_SB_SB_NS_16TensorDescriptorINS6_IJNS_5EmbedINS6_IJiiEEENS6_IJiNS_17integral_constantIiLi1EEEEEELb0EEENS_11PassThroughIiEESU_NS_7UnMergeINS6_IJiNSP_IiLi8EEEEEELb0EEESU_EEENS6_IJNSF_IJLi0EEEENSF_IJLi1EEEENSF_IJLi2EEEENSF_IJLi4EEEENSF_IJLi3EEEEEEENS6_IJNSF_IJLi1ELi2EEEES14_S13_NSF_IJLi5ELi6EEEENSF_IJLi7EEEEEEENSF_IJLi5ELi7ELi6EEEElEES1B_S7_NSM_INS6_IJSS_SU_SU_NSV_INS6_IJiNSP_IiLi128EEEEEELb0EEES1E_EEENS6_IJS10_S11_S12_S14_S13_EEENS6_IJS16_S14_S13_S17_NSF_IJLi7ELi8EEEEEEENSF_IJLi5ELi6ELi7ELi8EEEElEENS_31BlockToCTileMap_M00_N0_M01AdaptILi128ELi128ENSM_INS6_IJSS_SU_SU_EEENS6_IJS10_S11_S12_EEENS6_IJS16_S14_S13_EEENSF_IJLi3ELi4EEEElEEiEELb0ELi2EEEvPKT0_PKT1_T2_PT3_T4_T5_T6_T7_T8_T9_T10_T11_
	.globl	_ZN2ck51kernel_gemm_multiple_d_xdl_cshuffle_lds_direct_loadINS_48GridwiseGemmMultipleD_Xdl_CShuffle_LdsDirectLoadINS_13tensor_layout4gemm8RowMajorENS3_11ColumnMajorENS_5TupleIJEEES4_ffDB19_ffS7_fNS_16tensor_operation12element_wise11PassThroughESB_SB_LNS_25InMemoryDataOperationEnumE0ELNS9_6device18GemmSpecializationE0ELi1ELi256ELi128ELi128ELi32ELi8ELi8ELi32ELi32ELi2ELi2ENS_8SequenceIJLi4ELi8ELi8EEEENSF_IJLi1ELi0ELi2EEEELi2ELi1ELi1ESG_SH_Li2ELi1ELi1ELi1ELi1ENSF_IJLi1ELi8ELi1ELi8EEEELi4ELNS_13LoopSchedulerE0ELNS_15PipelineVersionE2ES8_EEffS7_fSB_SB_SB_NS_16TensorDescriptorINS6_IJNS_5EmbedINS6_IJiiEEENS6_IJiNS_17integral_constantIiLi1EEEEEELb0EEENS_11PassThroughIiEESU_NS_7UnMergeINS6_IJiNSP_IiLi8EEEEEELb0EEESU_EEENS6_IJNSF_IJLi0EEEENSF_IJLi1EEEENSF_IJLi2EEEENSF_IJLi4EEEENSF_IJLi3EEEEEEENS6_IJNSF_IJLi1ELi2EEEES14_S13_NSF_IJLi5ELi6EEEENSF_IJLi7EEEEEEENSF_IJLi5ELi7ELi6EEEElEES1B_S7_NSM_INS6_IJSS_SU_SU_NSV_INS6_IJiNSP_IiLi128EEEEEELb0EEES1E_EEENS6_IJS10_S11_S12_S14_S13_EEENS6_IJS16_S14_S13_S17_NSF_IJLi7ELi8EEEEEEENSF_IJLi5ELi6ELi7ELi8EEEElEENS_31BlockToCTileMap_M00_N0_M01AdaptILi128ELi128ENSM_INS6_IJSS_SU_SU_EEENS6_IJS10_S11_S12_EEENS6_IJS16_S14_S13_EEENSF_IJLi3ELi4EEEElEEiEELb0ELi2EEEvPKT0_PKT1_T2_PT3_T4_T5_T6_T7_T8_T9_T10_T11_
	.p2align	8
	.type	_ZN2ck51kernel_gemm_multiple_d_xdl_cshuffle_lds_direct_loadINS_48GridwiseGemmMultipleD_Xdl_CShuffle_LdsDirectLoadINS_13tensor_layout4gemm8RowMajorENS3_11ColumnMajorENS_5TupleIJEEES4_ffDB19_ffS7_fNS_16tensor_operation12element_wise11PassThroughESB_SB_LNS_25InMemoryDataOperationEnumE0ELNS9_6device18GemmSpecializationE0ELi1ELi256ELi128ELi128ELi32ELi8ELi8ELi32ELi32ELi2ELi2ENS_8SequenceIJLi4ELi8ELi8EEEENSF_IJLi1ELi0ELi2EEEELi2ELi1ELi1ESG_SH_Li2ELi1ELi1ELi1ELi1ENSF_IJLi1ELi8ELi1ELi8EEEELi4ELNS_13LoopSchedulerE0ELNS_15PipelineVersionE2ES8_EEffS7_fSB_SB_SB_NS_16TensorDescriptorINS6_IJNS_5EmbedINS6_IJiiEEENS6_IJiNS_17integral_constantIiLi1EEEEEELb0EEENS_11PassThroughIiEESU_NS_7UnMergeINS6_IJiNSP_IiLi8EEEEEELb0EEESU_EEENS6_IJNSF_IJLi0EEEENSF_IJLi1EEEENSF_IJLi2EEEENSF_IJLi4EEEENSF_IJLi3EEEEEEENS6_IJNSF_IJLi1ELi2EEEES14_S13_NSF_IJLi5ELi6EEEENSF_IJLi7EEEEEEENSF_IJLi5ELi7ELi6EEEElEES1B_S7_NSM_INS6_IJSS_SU_SU_NSV_INS6_IJiNSP_IiLi128EEEEEELb0EEES1E_EEENS6_IJS10_S11_S12_S14_S13_EEENS6_IJS16_S14_S13_S17_NSF_IJLi7ELi8EEEEEEENSF_IJLi5ELi6ELi7ELi8EEEElEENS_31BlockToCTileMap_M00_N0_M01AdaptILi128ELi128ENSM_INS6_IJSS_SU_SU_EEENS6_IJS10_S11_S12_EEENS6_IJS16_S14_S13_EEENSF_IJLi3ELi4EEEElEEiEELb0ELi2EEEvPKT0_PKT1_T2_PT3_T4_T5_T6_T7_T8_T9_T10_T11_,@function
_ZN2ck51kernel_gemm_multiple_d_xdl_cshuffle_lds_direct_loadINS_48GridwiseGemmMultipleD_Xdl_CShuffle_LdsDirectLoadINS_13tensor_layout4gemm8RowMajorENS3_11ColumnMajorENS_5TupleIJEEES4_ffDB19_ffS7_fNS_16tensor_operation12element_wise11PassThroughESB_SB_LNS_25InMemoryDataOperationEnumE0ELNS9_6device18GemmSpecializationE0ELi1ELi256ELi128ELi128ELi32ELi8ELi8ELi32ELi32ELi2ELi2ENS_8SequenceIJLi4ELi8ELi8EEEENSF_IJLi1ELi0ELi2EEEELi2ELi1ELi1ESG_SH_Li2ELi1ELi1ELi1ELi1ENSF_IJLi1ELi8ELi1ELi8EEEELi4ELNS_13LoopSchedulerE0ELNS_15PipelineVersionE2ES8_EEffS7_fSB_SB_SB_NS_16TensorDescriptorINS6_IJNS_5EmbedINS6_IJiiEEENS6_IJiNS_17integral_constantIiLi1EEEEEELb0EEENS_11PassThroughIiEESU_NS_7UnMergeINS6_IJiNSP_IiLi8EEEEEELb0EEESU_EEENS6_IJNSF_IJLi0EEEENSF_IJLi1EEEENSF_IJLi2EEEENSF_IJLi4EEEENSF_IJLi3EEEEEEENS6_IJNSF_IJLi1ELi2EEEES14_S13_NSF_IJLi5ELi6EEEENSF_IJLi7EEEEEEENSF_IJLi5ELi7ELi6EEEElEES1B_S7_NSM_INS6_IJSS_SU_SU_NSV_INS6_IJiNSP_IiLi128EEEEEELb0EEES1E_EEENS6_IJS10_S11_S12_S14_S13_EEENS6_IJS16_S14_S13_S17_NSF_IJLi7ELi8EEEEEEENSF_IJLi5ELi6ELi7ELi8EEEElEENS_31BlockToCTileMap_M00_N0_M01AdaptILi128ELi128ENSM_INS6_IJSS_SU_SU_EEENS6_IJS10_S11_S12_EEENS6_IJS16_S14_S13_EEENSF_IJLi3ELi4EEEElEEiEELb0ELi2EEEvPKT0_PKT1_T2_PT3_T4_T5_T6_T7_T8_T9_T10_T11_: ; @_ZN2ck51kernel_gemm_multiple_d_xdl_cshuffle_lds_direct_loadINS_48GridwiseGemmMultipleD_Xdl_CShuffle_LdsDirectLoadINS_13tensor_layout4gemm8RowMajorENS3_11ColumnMajorENS_5TupleIJEEES4_ffDB19_ffS7_fNS_16tensor_operation12element_wise11PassThroughESB_SB_LNS_25InMemoryDataOperationEnumE0ELNS9_6device18GemmSpecializationE0ELi1ELi256ELi128ELi128ELi32ELi8ELi8ELi32ELi32ELi2ELi2ENS_8SequenceIJLi4ELi8ELi8EEEENSF_IJLi1ELi0ELi2EEEELi2ELi1ELi1ESG_SH_Li2ELi1ELi1ELi1ELi1ENSF_IJLi1ELi8ELi1ELi8EEEELi4ELNS_13LoopSchedulerE0ELNS_15PipelineVersionE2ES8_EEffS7_fSB_SB_SB_NS_16TensorDescriptorINS6_IJNS_5EmbedINS6_IJiiEEENS6_IJiNS_17integral_constantIiLi1EEEEEELb0EEENS_11PassThroughIiEESU_NS_7UnMergeINS6_IJiNSP_IiLi8EEEEEELb0EEESU_EEENS6_IJNSF_IJLi0EEEENSF_IJLi1EEEENSF_IJLi2EEEENSF_IJLi4EEEENSF_IJLi3EEEEEEENS6_IJNSF_IJLi1ELi2EEEES14_S13_NSF_IJLi5ELi6EEEENSF_IJLi7EEEEEEENSF_IJLi5ELi7ELi6EEEElEES1B_S7_NSM_INS6_IJSS_SU_SU_NSV_INS6_IJiNSP_IiLi128EEEEEELb0EEES1E_EEENS6_IJS10_S11_S12_S14_S13_EEENS6_IJS16_S14_S13_S17_NSF_IJLi7ELi8EEEEEEENSF_IJLi5ELi6ELi7ELi8EEEElEENS_31BlockToCTileMap_M00_N0_M01AdaptILi128ELi128ENSM_INS6_IJSS_SU_SU_EEENS6_IJS10_S11_S12_EEENS6_IJS16_S14_S13_EEENSF_IJLi3ELi4EEEElEEiEELb0ELi2EEEvPKT0_PKT1_T2_PT3_T4_T5_T6_T7_T8_T9_T10_T11_
; %bb.0:
	s_load_dwordx4 s[8:11], s[4:5], 0xd8
	s_load_dword s2, s[4:5], 0xe8
	v_lshrrev_b32_e32 v2, 5, v0
	v_and_b32_e32 v4, 0xc0, v0
	v_or_b32_e32 v9, 0x100, v4
	s_waitcnt lgkmcnt(0)
	s_add_i32 s1, s10, 0x7f
	s_ashr_i32 s3, s1, 31
	s_add_i32 s0, s11, 0x7f
	s_lshr_b32 s3, s3, 25
	s_add_i32 s3, s1, s3
	s_ashr_i32 s1, s0, 31
	s_lshr_b32 s1, s1, 25
	s_add_i32 s0, s0, s1
	s_ashr_i32 s7, s3, 7
	s_ashr_i32 s10, s0, 7
	s_mul_i32 s0, s10, s7
	s_abs_i32 s0, s0
	v_cvt_f32_u32_e32 v1, s0
	s_sub_i32 s9, 0, s0
	s_ashr_i32 s1, s6, 31
	s_abs_i32 s6, s6
	v_rcp_iflag_f32_e32 v1, v1
	v_and_b32_e32 v5, 63, v0
	v_and_b32_e32 v6, 32, v0
	v_sub_u32_e32 v6, v5, v6
	v_mul_f32_e32 v1, 0x4f7ffffe, v1
	v_cvt_u32_f32_e32 v1, v1
	v_lshrrev_b32_e32 v68, 1, v0
	v_lshrrev_b32_e32 v5, 2, v0
	v_and_b32_e32 v7, 16, v68
	v_readfirstlane_b32 s11, v1
	s_mul_i32 s9, s9, s11
	s_mul_hi_u32 s9, s11, s9
	s_add_i32 s11, s11, s9
	s_mul_hi_u32 s9, s6, s11
	s_mul_i32 s9, s9, s0
	s_sub_i32 s6, s6, s9
	s_sub_i32 s9, s6, s0
	s_cmp_ge_u32 s6, s0
	s_cselect_b32 s6, s9, s6
	s_sub_i32 s9, s6, s0
	s_cmp_ge_u32 s6, s0
	s_cselect_b32 s0, s9, s6
	s_abs_i32 s6, s10
	v_cvt_f32_u32_e32 v1, s6
	s_xor_b32 s0, s0, s1
	s_sub_i32 s11, s0, s1
	s_xor_b32 s0, s11, s10
	v_rcp_iflag_f32_e32 v1, v1
	s_sub_i32 s9, 0, s6
	s_ashr_i32 s16, s0, 31
	s_abs_i32 s1, s11
	v_mul_f32_e32 v1, 0x4f7ffffe, v1
	v_cvt_u32_f32_e32 v1, v1
	v_and_b32_e32 v5, 32, v5
	v_add_u32_e32 v5, v6, v5
	v_lshlrev_b32_e32 v69, 4, v0
	v_readfirstlane_b32 s0, v1
	s_mul_i32 s9, s9, s0
	s_mul_hi_u32 s9, s0, s9
	s_add_i32 s0, s0, s9
	s_mul_hi_u32 s0, s1, s0
	s_mul_i32 s9, s0, s6
	s_sub_i32 s1, s1, s9
	s_add_i32 s12, s0, 1
	s_sub_i32 s9, s1, s6
	s_cmp_ge_u32 s1, s6
	s_cselect_b32 s0, s12, s0
	s_cselect_b32 s1, s9, s1
	s_add_i32 s9, s0, 1
	s_cmp_ge_u32 s1, s6
	s_cselect_b32 s6, s9, s0
	s_abs_i32 s9, s2
	v_cvt_f32_u32_e32 v1, s9
	s_sub_i32 s18, 0, s9
	s_abs_i32 s17, s7
	s_xor_b32 s6, s6, s16
	v_rcp_iflag_f32_e32 v1, v1
	s_ashr_i32 s3, s3, 31
	s_sub_i32 s6, s6, s16
	s_mul_i32 s16, s6, s10
	v_mul_f32_e32 v1, 0x4f7ffffe, v1
	v_cvt_u32_f32_e32 v1, v1
	s_load_dwordx4 s[12:15], s[4:5], 0x0
	s_load_dwordx2 s[0:1], s[4:5], 0x18
	v_and_b32_e32 v8, 0x400, v69
	v_lshl_add_u32 v6, v6, 5, v8
	v_readfirstlane_b32 s19, v1
	s_mul_i32 s18, s18, s19
	s_mul_hi_u32 s18, s19, s18
	s_add_i32 s19, s19, s18
	s_mul_hi_u32 s18, s17, s19
	s_mul_i32 s18, s18, s9
	s_sub_i32 s17, s17, s18
	s_sub_i32 s18, s17, s9
	s_cmp_ge_u32 s17, s9
	s_cselect_b32 s17, s18, s17
	s_sub_i32 s18, s17, s9
	s_cmp_ge_u32 s17, s9
	s_cselect_b32 s17, s18, s17
	s_xor_b32 s17, s17, s3
	s_sub_i32 s3, s17, s3
	s_sub_i32 s7, s7, s3
	s_cmp_lt_i32 s6, s7
	s_cselect_b32 s2, s2, s3
	s_sub_i32 s3, s11, s16
	s_abs_i32 s11, s6
	s_mul_hi_u32 s16, s11, s19
	s_mul_i32 s16, s16, s9
	s_sub_i32 s11, s11, s16
	s_ashr_i32 s7, s6, 31
	s_sub_i32 s16, s11, s9
	s_cmp_ge_u32 s11, s9
	s_cselect_b32 s11, s16, s11
	s_sub_i32 s16, s11, s9
	s_cmp_ge_u32 s11, s9
	s_cselect_b32 s11, s16, s11
	s_abs_i32 s16, s2
	v_cvt_f32_u32_e32 v1, s16
	s_load_dword s17, s[4:5], 0x30
	s_load_dword s18, s[4:5], 0x58
	;; [unrolled: 1-line block ×5, first 2 shown]
	s_xor_b32 s4, s11, s7
	s_sub_i32 s4, s4, s7
	v_rcp_iflag_f32_e32 v1, v1
	s_mul_i32 s5, s4, s10
	s_sub_i32 s10, 0, s16
	s_add_i32 s5, s5, s3
	v_mul_f32_e32 v1, 0x4f7ffffe, v1
	v_cvt_u32_f32_e32 v1, v1
	s_abs_i32 s7, s5
	s_xor_b32 s3, s5, s2
	s_ashr_i32 s3, s3, 31
	v_readfirstlane_b32 s11, v1
	s_mul_i32 s10, s10, s11
	s_mul_hi_u32 s10, s11, s10
	s_add_i32 s11, s11, s10
	s_mul_hi_u32 s10, s7, s11
	s_mul_i32 s11, s10, s16
	s_sub_i32 s7, s7, s11
	s_add_i32 s11, s10, 1
	s_sub_i32 s21, s7, s16
	s_cmp_ge_u32 s7, s16
	s_cselect_b32 s10, s11, s10
	s_cselect_b32 s7, s21, s7
	s_add_i32 s11, s10, 1
	s_cmp_ge_u32 s7, s16
	s_cselect_b32 s7, s11, s10
	s_xor_b32 s7, s7, s3
	s_sub_i32 s3, s7, s3
	s_mul_i32 s2, s3, s2
	s_sub_i32 s2, s5, s2
	s_sub_i32 s4, s6, s4
	s_add_i32 s4, s4, s2
	s_lshl_b32 s10, s4, 7
	v_add_u32_e32 v3, s10, v2
	v_readfirstlane_b32 s2, v4
	s_lshl_b32 s11, s3, 7
	v_and_b32_e32 v1, 31, v0
	s_waitcnt lgkmcnt(0)
	v_mul_lo_u32 v3, v3, s17
	s_lshl_b32 s2, s2, 2
	v_readfirstlane_b32 s3, v9
	v_or_b32_e32 v9, 0x200, v4
	s_lshl_b32 s6, s18, 2
	s_mov_b32 s7, 0x20000
	s_mov_b32 s4, s12
	;; [unrolled: 1-line block ×3, first 2 shown]
	v_add_lshl_u32 v3, v3, v1, 2
	s_mov_b32 m0, s2
	s_lshl_b32 s12, s17, 5
	s_lshl_b32 s3, s3, 2
	v_readfirstlane_b32 s13, v9
	v_or_b32_e32 v9, 0x300, v4
	buffer_load_dword v3, s[4:7], 0 offen lds
	v_add_u32_e32 v3, s12, v3
	s_mov_b32 m0, s3
	s_lshl_b32 s13, s13, 2
	v_readfirstlane_b32 s16, v9
	v_or_b32_e32 v9, 0x400, v4
	buffer_load_dword v3, s[4:7], 0 offen lds
	v_add_u32_e32 v3, s12, v3
	s_mov_b32 m0, s13
	;; [unrolled: 6-line block ×12, first 2 shown]
	s_lshl_b32 s28, s28, 2
	v_readfirstlane_b32 s29, v9
	buffer_load_dword v3, s[4:7], 0 offen lds
	v_add_u32_e32 v3, s12, v3
	s_mov_b32 m0, s28
	s_lshl_b32 s29, s29, 2
	v_or_b32_e32 v4, 0xf00, v4
	buffer_load_dword v3, s[4:7], 0 offen lds
	v_add_u32_e32 v3, s12, v3
	s_mov_b32 m0, s29
	v_readfirstlane_b32 s30, v4
	v_add_u32_e32 v2, s11, v2
	buffer_load_dword v3, s[4:7], 0 offen lds
	v_add_u32_e32 v3, s12, v3
	s_lshl_b32 s12, s30, 2
	v_mul_lo_u32 v2, v2, s19
	s_mov_b32 m0, s12
	s_addk_i32 s2, 0x4000
	buffer_load_dword v3, s[4:7], 0 offen lds
	s_lshl_b32 s6, s20, 2
	s_mov_b32 s4, s14
	s_mov_b32 s5, s15
	v_add_lshl_u32 v2, v2, v1, 2
	s_mov_b32 m0, s2
	s_lshl_b32 s2, s19, 5
	s_addk_i32 s3, 0x4000
	buffer_load_dword v2, s[4:7], 0 offen lds
	v_add_u32_e32 v2, s2, v2
	s_mov_b32 m0, s3
	s_addk_i32 s13, 0x4000
	buffer_load_dword v2, s[4:7], 0 offen lds
	v_add_u32_e32 v2, s2, v2
	s_mov_b32 m0, s13
	;; [unrolled: 4-line block ×15, first 2 shown]
	v_or_b32_e32 v6, v6, v7
	buffer_load_dword v2, s[4:7], 0 offen lds
	v_lshlrev_b32_e32 v2, 2, v7
	v_lshl_or_b32 v66, v5, 7, v2
	;;#ASMSTART
	    s_waitcnt vmcnt(0) 
     s_waitcnt lgkmcnt(0) 
     s_barrier     
	;;#ASMEND
	s_waitcnt vmcnt(0)
	ds_read_b128 v[2:5], v66
	v_lshlrev_b32_e32 v67, 2, v6
	ds_read_b128 v[18:21], v67 offset:16384
	ds_read_b128 v[6:9], v66 offset:16
	;; [unrolled: 1-line block ×9, first 2 shown]
	s_waitcnt lgkmcnt(8)
	v_mfma_f32_32x32x2f32 v[50:65], v2, v18, 0
	ds_read_b128 v[78:81], v67 offset:24608
	ds_read_b128 v[82:85], v67 offset:24624
	;; [unrolled: 1-line block ×6, first 2 shown]
	s_movk_i32 s4, 0x800
	v_cmp_gt_u32_e32 vcc, 64, v0
	v_mov_b32_e32 v66, 0
	s_waitcnt lgkmcnt(7)
	v_mfma_f32_32x32x2f32 v[34:49], v2, v70, 0
	v_mfma_f32_32x32x2f32 v[50:65], v3, v19, v[50:65]
	v_mfma_f32_32x32x2f32 v[34:49], v3, v71, v[34:49]
	v_mfma_f32_32x32x2f32 v[50:65], v4, v20, v[50:65]
	v_mfma_f32_32x32x2f32 v[34:49], v4, v72, v[34:49]
	v_mfma_f32_32x32x2f32 v[50:65], v5, v21, v[50:65]
	v_mfma_f32_32x32x2f32 v[34:49], v5, v73, v[34:49]
	v_mfma_f32_32x32x2f32 v[50:65], v6, v22, v[50:65]
	s_waitcnt lgkmcnt(6)
	v_mfma_f32_32x32x2f32 v[34:49], v6, v74, v[34:49]
	v_mfma_f32_32x32x2f32 v[50:65], v7, v23, v[50:65]
	v_mfma_f32_32x32x2f32 v[34:49], v7, v75, v[34:49]
	v_mfma_f32_32x32x2f32 v[50:65], v8, v24, v[50:65]
	v_mfma_f32_32x32x2f32 v[34:49], v8, v76, v[34:49]
	v_mfma_f32_32x32x2f32 v[50:65], v9, v25, v[50:65]
	v_mfma_f32_32x32x2f32 v[34:49], v9, v77, v[34:49]
	v_mfma_f32_32x32x2f32 v[50:65], v10, v26, v[50:65]
	s_waitcnt lgkmcnt(5)
	v_mfma_f32_32x32x2f32 v[34:49], v10, v78, v[34:49]
	v_mfma_f32_32x32x2f32 v[50:65], v11, v27, v[50:65]
	v_mfma_f32_32x32x2f32 v[34:49], v11, v79, v[34:49]
	v_mfma_f32_32x32x2f32 v[50:65], v12, v28, v[50:65]
	v_mfma_f32_32x32x2f32 v[34:49], v12, v80, v[34:49]
	v_mfma_f32_32x32x2f32 v[50:65], v13, v29, v[50:65]
	v_mfma_f32_32x32x2f32 v[34:49], v13, v81, v[34:49]
	v_mfma_f32_32x32x2f32 v[50:65], v14, v30, v[50:65]
	s_waitcnt lgkmcnt(4)
	v_mfma_f32_32x32x2f32 v[34:49], v14, v82, v[34:49]
	v_mfma_f32_32x32x2f32 v[50:65], v15, v31, v[50:65]
	;; [unrolled: 1-line block ×7, first 2 shown]
	s_waitcnt lgkmcnt(3)
	v_mfma_f32_32x32x2f32 v[2:17], v86, v18, 0
	v_mfma_f32_32x32x2f32 v[2:17], v87, v19, v[2:17]
	v_mfma_f32_32x32x2f32 v[2:17], v88, v20, v[2:17]
	v_mfma_f32_32x32x2f32 v[2:17], v89, v21, v[2:17]
	s_waitcnt lgkmcnt(2)
	v_mfma_f32_32x32x2f32 v[2:17], v90, v22, v[2:17]
	v_mfma_f32_32x32x2f32 v[2:17], v91, v23, v[2:17]
	v_mfma_f32_32x32x2f32 v[2:17], v92, v24, v[2:17]
	v_mfma_f32_32x32x2f32 v[2:17], v93, v25, v[2:17]
	s_waitcnt lgkmcnt(1)
	v_mfma_f32_32x32x2f32 v[2:17], v94, v26, v[2:17]
	v_mfma_f32_32x32x2f32 v[2:17], v95, v27, v[2:17]
	v_mfma_f32_32x32x2f32 v[2:17], v96, v28, v[2:17]
	v_mfma_f32_32x32x2f32 v[2:17], v97, v29, v[2:17]
	s_waitcnt lgkmcnt(0)
	v_mfma_f32_32x32x2f32 v[2:17], v98, v30, v[2:17]
	v_mfma_f32_32x32x2f32 v[2:17], v99, v31, v[2:17]
	v_mfma_f32_32x32x2f32 v[2:17], v100, v32, v[2:17]
	v_mfma_f32_32x32x2f32 v[2:17], v101, v33, v[2:17]
	v_mfma_f32_32x32x2f32 v[18:33], v86, v70, 0
	v_mov_b32_e32 v70, 0
	v_mfma_f32_32x32x2f32 v[18:33], v87, v71, v[18:33]
	v_lshlrev_b32_e32 v71, 3, v0
	v_mfma_f32_32x32x2f32 v[18:33], v88, v72, v[18:33]
	v_mfma_f32_32x32x2f32 v[18:33], v89, v73, v[18:33]
	;; [unrolled: 1-line block ×14, first 2 shown]
	s_and_saveexec_b64 s[2:3], vcc
; %bb.1:
	v_and_b32_e32 v66, 56, v71
	v_and_b32_e32 v0, 56, v0
	v_lshl_or_b32 v70, v0, 6, v66
	v_or_b32_e32 v67, s10, v0
	v_or_b32_e32 v0, s11, v66
	v_mad_u64_u32 v[66:67], s[6:7], v67, s9, v[0:1]
; %bb.2:
	s_or_b64 exec, exec, s[2:3]
	v_and_b32_e32 v67, 0x100, v71
	v_and_b32_e32 v0, 32, v68
	v_and_or_b32 v67, v69, s4, v67
	v_or3_b32 v0, v67, v0, v1
	v_lshlrev_b32_e32 v1, 2, v0
	v_lshlrev_b32_e32 v0, 2, v70
	s_mul_i32 s6, s9, -7
	s_waitcnt lgkmcnt(0)
	s_barrier
	ds_write2st64_b32 v1, v50, v51 offset1:1
	ds_write2st64_b32 v1, v52, v53 offset0:2 offset1:3
	ds_write2st64_b32 v1, v56, v57 offset0:10 offset1:11
	;; [unrolled: 1-line block ×7, first 2 shown]
	s_waitcnt lgkmcnt(0)
	s_barrier
	s_and_saveexec_b64 s[4:5], vcc
	s_cbranch_execz .LBB2_4
; %bb.3:
	ds_read_b128 v[50:53], v0
	ds_read_b128 v[54:57], v0 offset:16
	s_lshl_b32 s2, s8, 2
	s_mov_b32 s3, 0x20000
	v_lshlrev_b32_e32 v58, 2, v66
	s_waitcnt lgkmcnt(1)
	buffer_store_dwordx4 v[50:53], v58, s[0:3], 0 offen
	v_add_u32_e32 v58, 4, v66
	ds_read_b128 v[50:53], v0 offset:272
	v_lshlrev_b32_e32 v59, 2, v58
	s_waitcnt lgkmcnt(1)
	buffer_store_dwordx4 v[54:57], v59, s[0:3], 0 offen
	ds_read_b128 v[54:57], v0 offset:256
	v_add_lshl_u32 v58, v58, s9, 2
	s_waitcnt lgkmcnt(1)
	buffer_store_dwordx4 v[50:53], v58, s[0:3], 0 offen
	v_add_u32_e32 v58, s9, v66
	ds_read_b128 v[50:53], v0 offset:512
	v_lshlrev_b32_e32 v59, 2, v58
	s_waitcnt lgkmcnt(1)
	buffer_store_dwordx4 v[54:57], v59, s[0:3], 0 offen
	ds_read_b128 v[54:57], v0 offset:528
	v_add_u32_e32 v58, s9, v58
	v_lshlrev_b32_e32 v59, 2, v58
	s_waitcnt lgkmcnt(1)
	buffer_store_dwordx4 v[50:53], v59, s[0:3], 0 offen
	v_add_u32_e32 v59, 4, v58
	ds_read_b128 v[50:53], v0 offset:784
	v_lshlrev_b32_e32 v60, 2, v59
	s_waitcnt lgkmcnt(1)
	buffer_store_dwordx4 v[54:57], v60, s[0:3], 0 offen
	ds_read_b128 v[54:57], v0 offset:768
	v_add_lshl_u32 v59, v59, s9, 2
	s_waitcnt lgkmcnt(1)
	buffer_store_dwordx4 v[50:53], v59, s[0:3], 0 offen
	v_add_u32_e32 v58, s9, v58
	ds_read_b128 v[50:53], v0 offset:1024
	v_lshlrev_b32_e32 v59, 2, v58
	s_waitcnt lgkmcnt(1)
	buffer_store_dwordx4 v[54:57], v59, s[0:3], 0 offen
	ds_read_b128 v[54:57], v0 offset:1040
	v_add_u32_e32 v58, s9, v58
	;; [unrolled: 19-line block ×3, first 2 shown]
	v_lshlrev_b32_e32 v59, 2, v58
	s_waitcnt lgkmcnt(1)
	buffer_store_dwordx4 v[50:53], v59, s[0:3], 0 offen
	v_add_u32_e32 v59, 4, v58
	ds_read_b128 v[50:53], v0 offset:1808
	v_lshlrev_b32_e32 v60, 2, v59
	s_waitcnt lgkmcnt(1)
	buffer_store_dwordx4 v[54:57], v60, s[0:3], 0 offen
	ds_read_b128 v[54:57], v0 offset:1792
	v_add_lshl_u32 v59, v59, s9, 2
	s_waitcnt lgkmcnt(1)
	buffer_store_dwordx4 v[50:53], v59, s[0:3], 0 offen
	s_nop 0
	v_add_u32_e32 v50, s9, v58
	v_lshlrev_b32_e32 v51, 2, v50
	v_add3_u32 v66, s6, 64, v50
	s_waitcnt lgkmcnt(0)
	buffer_store_dwordx4 v[54:57], v51, s[0:3], 0 offen
.LBB2_4:
	s_or_b64 exec, exec, s[4:5]
	s_waitcnt lgkmcnt(0)
	s_barrier
	ds_write2st64_b32 v1, v34, v35 offset1:1
	ds_write2st64_b32 v1, v36, v37 offset0:2 offset1:3
	ds_write2st64_b32 v1, v40, v41 offset0:10 offset1:11
	;; [unrolled: 1-line block ×7, first 2 shown]
	s_waitcnt lgkmcnt(0)
	s_barrier
	s_and_saveexec_b64 s[4:5], vcc
	s_cbranch_execz .LBB2_6
; %bb.5:
	ds_read_b128 v[34:37], v0
	ds_read_b128 v[38:41], v0 offset:16
	s_lshl_b32 s2, s8, 2
	s_mov_b32 s3, 0x20000
	v_lshlrev_b32_e32 v42, 2, v66
	s_waitcnt lgkmcnt(1)
	buffer_store_dwordx4 v[34:37], v42, s[0:3], 0 offen
	v_add_u32_e32 v42, 4, v66
	ds_read_b128 v[34:37], v0 offset:272
	v_lshlrev_b32_e32 v43, 2, v42
	s_waitcnt lgkmcnt(1)
	buffer_store_dwordx4 v[38:41], v43, s[0:3], 0 offen
	ds_read_b128 v[38:41], v0 offset:256
	v_add_lshl_u32 v42, v42, s9, 2
	s_waitcnt lgkmcnt(1)
	buffer_store_dwordx4 v[34:37], v42, s[0:3], 0 offen
	v_add_u32_e32 v42, s9, v66
	ds_read_b128 v[34:37], v0 offset:512
	v_lshlrev_b32_e32 v43, 2, v42
	s_waitcnt lgkmcnt(1)
	buffer_store_dwordx4 v[38:41], v43, s[0:3], 0 offen
	ds_read_b128 v[38:41], v0 offset:528
	v_add_u32_e32 v42, s9, v42
	v_lshlrev_b32_e32 v43, 2, v42
	s_waitcnt lgkmcnt(1)
	buffer_store_dwordx4 v[34:37], v43, s[0:3], 0 offen
	v_add_u32_e32 v43, 4, v42
	ds_read_b128 v[34:37], v0 offset:784
	v_lshlrev_b32_e32 v44, 2, v43
	s_waitcnt lgkmcnt(1)
	buffer_store_dwordx4 v[38:41], v44, s[0:3], 0 offen
	ds_read_b128 v[38:41], v0 offset:768
	v_add_lshl_u32 v43, v43, s9, 2
	s_waitcnt lgkmcnt(1)
	buffer_store_dwordx4 v[34:37], v43, s[0:3], 0 offen
	v_add_u32_e32 v42, s9, v42
	ds_read_b128 v[34:37], v0 offset:1024
	v_lshlrev_b32_e32 v43, 2, v42
	s_waitcnt lgkmcnt(1)
	buffer_store_dwordx4 v[38:41], v43, s[0:3], 0 offen
	ds_read_b128 v[38:41], v0 offset:1040
	v_add_u32_e32 v42, s9, v42
	;; [unrolled: 19-line block ×3, first 2 shown]
	v_lshlrev_b32_e32 v43, 2, v42
	s_waitcnt lgkmcnt(1)
	buffer_store_dwordx4 v[34:37], v43, s[0:3], 0 offen
	v_add_u32_e32 v43, 4, v42
	ds_read_b128 v[34:37], v0 offset:1808
	v_lshlrev_b32_e32 v44, 2, v43
	s_waitcnt lgkmcnt(1)
	buffer_store_dwordx4 v[38:41], v44, s[0:3], 0 offen
	ds_read_b128 v[38:41], v0 offset:1792
	v_add_lshl_u32 v43, v43, s9, 2
	s_waitcnt lgkmcnt(1)
	buffer_store_dwordx4 v[34:37], v43, s[0:3], 0 offen
	s_nop 0
	v_add_u32_e32 v34, s9, v42
	v_lshlrev_b32_e32 v35, 2, v34
	s_waitcnt lgkmcnt(0)
	buffer_store_dwordx4 v[38:41], v35, s[0:3], 0 offen
	v_mad_u64_u32 v[66:67], s[2:3], s9, 57, v[34:35]
.LBB2_6:
	s_or_b64 exec, exec, s[4:5]
	s_waitcnt lgkmcnt(0)
	s_barrier
	ds_write2st64_b32 v1, v18, v19 offset1:1
	ds_write2st64_b32 v1, v20, v21 offset0:2 offset1:3
	ds_write2st64_b32 v1, v24, v25 offset0:10 offset1:11
	;; [unrolled: 1-line block ×7, first 2 shown]
	s_waitcnt lgkmcnt(0)
	s_barrier
	s_and_saveexec_b64 s[4:5], vcc
	s_cbranch_execz .LBB2_8
; %bb.7:
	ds_read_b128 v[18:21], v0
	ds_read_b128 v[22:25], v0 offset:16
	s_lshl_b32 s2, s8, 2
	s_mov_b32 s3, 0x20000
	v_lshlrev_b32_e32 v26, 2, v66
	s_waitcnt lgkmcnt(1)
	buffer_store_dwordx4 v[18:21], v26, s[0:3], 0 offen
	v_add_u32_e32 v26, 4, v66
	ds_read_b128 v[18:21], v0 offset:272
	v_lshlrev_b32_e32 v27, 2, v26
	s_waitcnt lgkmcnt(1)
	buffer_store_dwordx4 v[22:25], v27, s[0:3], 0 offen
	ds_read_b128 v[22:25], v0 offset:256
	v_add_lshl_u32 v26, v26, s9, 2
	s_waitcnt lgkmcnt(1)
	buffer_store_dwordx4 v[18:21], v26, s[0:3], 0 offen
	v_add_u32_e32 v26, s9, v66
	ds_read_b128 v[18:21], v0 offset:512
	v_lshlrev_b32_e32 v27, 2, v26
	s_waitcnt lgkmcnt(1)
	buffer_store_dwordx4 v[22:25], v27, s[0:3], 0 offen
	ds_read_b128 v[22:25], v0 offset:528
	v_add_u32_e32 v26, s9, v26
	v_lshlrev_b32_e32 v27, 2, v26
	s_waitcnt lgkmcnt(1)
	buffer_store_dwordx4 v[18:21], v27, s[0:3], 0 offen
	v_add_u32_e32 v27, 4, v26
	ds_read_b128 v[18:21], v0 offset:784
	v_lshlrev_b32_e32 v28, 2, v27
	s_waitcnt lgkmcnt(1)
	buffer_store_dwordx4 v[22:25], v28, s[0:3], 0 offen
	ds_read_b128 v[22:25], v0 offset:768
	v_add_lshl_u32 v27, v27, s9, 2
	s_waitcnt lgkmcnt(1)
	buffer_store_dwordx4 v[18:21], v27, s[0:3], 0 offen
	v_add_u32_e32 v26, s9, v26
	ds_read_b128 v[18:21], v0 offset:1024
	v_lshlrev_b32_e32 v27, 2, v26
	s_waitcnt lgkmcnt(1)
	buffer_store_dwordx4 v[22:25], v27, s[0:3], 0 offen
	ds_read_b128 v[22:25], v0 offset:1040
	v_add_u32_e32 v26, s9, v26
	;; [unrolled: 19-line block ×3, first 2 shown]
	v_lshlrev_b32_e32 v27, 2, v26
	s_waitcnt lgkmcnt(1)
	buffer_store_dwordx4 v[18:21], v27, s[0:3], 0 offen
	v_add_u32_e32 v27, 4, v26
	ds_read_b128 v[18:21], v0 offset:1808
	v_lshlrev_b32_e32 v28, 2, v27
	s_waitcnt lgkmcnt(1)
	buffer_store_dwordx4 v[22:25], v28, s[0:3], 0 offen
	ds_read_b128 v[22:25], v0 offset:1792
	v_add_lshl_u32 v27, v27, s9, 2
	s_waitcnt lgkmcnt(1)
	buffer_store_dwordx4 v[18:21], v27, s[0:3], 0 offen
	s_nop 0
	v_add_u32_e32 v18, s9, v26
	v_lshlrev_b32_e32 v19, 2, v18
	s_waitcnt lgkmcnt(0)
	buffer_store_dwordx4 v[22:25], v19, s[0:3], 0 offen
	s_sub_i32 s2, s6, 64
	v_add_u32_e32 v66, s2, v18
.LBB2_8:
	s_or_b64 exec, exec, s[4:5]
	s_waitcnt lgkmcnt(0)
	s_barrier
	ds_write2st64_b32 v1, v2, v3 offset1:1
	ds_write2st64_b32 v1, v4, v5 offset0:2 offset1:3
	ds_write2st64_b32 v1, v8, v9 offset0:10 offset1:11
	;; [unrolled: 1-line block ×7, first 2 shown]
	s_waitcnt lgkmcnt(0)
	s_barrier
	s_and_saveexec_b64 s[2:3], vcc
	s_cbranch_execz .LBB2_10
; %bb.9:
	ds_read_b128 v[2:5], v0
	ds_read_b128 v[6:9], v0 offset:16
	s_lshl_b32 s2, s8, 2
	s_mov_b32 s3, 0x20000
	v_lshlrev_b32_e32 v1, 2, v66
	s_waitcnt lgkmcnt(1)
	buffer_store_dwordx4 v[2:5], v1, s[0:3], 0 offen
	ds_read_b128 v[2:5], v0 offset:272
	v_add_u32_e32 v1, 4, v66
	v_lshlrev_b32_e32 v10, 2, v1
	s_waitcnt lgkmcnt(1)
	buffer_store_dwordx4 v[6:9], v10, s[0:3], 0 offen
	ds_read_b128 v[6:9], v0 offset:256
	v_add_lshl_u32 v1, v1, s9, 2
	s_waitcnt lgkmcnt(1)
	buffer_store_dwordx4 v[2:5], v1, s[0:3], 0 offen
	ds_read_b128 v[2:5], v0 offset:512
	v_add_u32_e32 v1, s9, v66
	v_lshlrev_b32_e32 v10, 2, v1
	v_add_u32_e32 v1, s9, v1
	s_waitcnt lgkmcnt(1)
	buffer_store_dwordx4 v[6:9], v10, s[0:3], 0 offen
	ds_read_b128 v[6:9], v0 offset:528
	v_lshlrev_b32_e32 v10, 2, v1
	s_waitcnt lgkmcnt(1)
	buffer_store_dwordx4 v[2:5], v10, s[0:3], 0 offen
	ds_read_b128 v[2:5], v0 offset:784
	v_add_u32_e32 v10, 4, v1
	v_lshlrev_b32_e32 v11, 2, v10
	s_waitcnt lgkmcnt(1)
	buffer_store_dwordx4 v[6:9], v11, s[0:3], 0 offen
	ds_read_b128 v[6:9], v0 offset:768
	v_add_lshl_u32 v10, v10, s9, 2
	s_waitcnt lgkmcnt(1)
	buffer_store_dwordx4 v[2:5], v10, s[0:3], 0 offen
	ds_read_b128 v[2:5], v0 offset:1024
	v_add_u32_e32 v1, s9, v1
	v_lshlrev_b32_e32 v10, 2, v1
	v_add_u32_e32 v1, s9, v1
	s_waitcnt lgkmcnt(1)
	buffer_store_dwordx4 v[6:9], v10, s[0:3], 0 offen
	ds_read_b128 v[6:9], v0 offset:1040
	;; [unrolled: 19-line block ×3, first 2 shown]
	v_lshlrev_b32_e32 v10, 2, v1
	s_waitcnt lgkmcnt(1)
	buffer_store_dwordx4 v[2:5], v10, s[0:3], 0 offen
	ds_read_b128 v[2:5], v0 offset:1808
	ds_read_b128 v[10:13], v0 offset:1792
	v_add_u32_e32 v14, 4, v1
	v_lshlrev_b32_e32 v15, 2, v14
	v_add_lshl_u32 v0, v14, s9, 2
	s_waitcnt lgkmcnt(2)
	buffer_store_dwordx4 v[6:9], v15, s[0:3], 0 offen
	s_waitcnt lgkmcnt(1)
	buffer_store_dwordx4 v[2:5], v0, s[0:3], 0 offen
	v_add_lshl_u32 v0, v1, s9, 2
	s_waitcnt lgkmcnt(0)
	buffer_store_dwordx4 v[10:13], v0, s[0:3], 0 offen
.LBB2_10:
	s_endpgm
	.section	.rodata,"a",@progbits
	.p2align	6, 0x0
	.amdhsa_kernel _ZN2ck51kernel_gemm_multiple_d_xdl_cshuffle_lds_direct_loadINS_48GridwiseGemmMultipleD_Xdl_CShuffle_LdsDirectLoadINS_13tensor_layout4gemm8RowMajorENS3_11ColumnMajorENS_5TupleIJEEES4_ffDB19_ffS7_fNS_16tensor_operation12element_wise11PassThroughESB_SB_LNS_25InMemoryDataOperationEnumE0ELNS9_6device18GemmSpecializationE0ELi1ELi256ELi128ELi128ELi32ELi8ELi8ELi32ELi32ELi2ELi2ENS_8SequenceIJLi4ELi8ELi8EEEENSF_IJLi1ELi0ELi2EEEELi2ELi1ELi1ESG_SH_Li2ELi1ELi1ELi1ELi1ENSF_IJLi1ELi8ELi1ELi8EEEELi4ELNS_13LoopSchedulerE0ELNS_15PipelineVersionE2ES8_EEffS7_fSB_SB_SB_NS_16TensorDescriptorINS6_IJNS_5EmbedINS6_IJiiEEENS6_IJiNS_17integral_constantIiLi1EEEEEELb0EEENS_11PassThroughIiEESU_NS_7UnMergeINS6_IJiNSP_IiLi8EEEEEELb0EEESU_EEENS6_IJNSF_IJLi0EEEENSF_IJLi1EEEENSF_IJLi2EEEENSF_IJLi4EEEENSF_IJLi3EEEEEEENS6_IJNSF_IJLi1ELi2EEEES14_S13_NSF_IJLi5ELi6EEEENSF_IJLi7EEEEEEENSF_IJLi5ELi7ELi6EEEElEES1B_S7_NSM_INS6_IJSS_SU_SU_NSV_INS6_IJiNSP_IiLi128EEEEEELb0EEES1E_EEENS6_IJS10_S11_S12_S14_S13_EEENS6_IJS16_S14_S13_S17_NSF_IJLi7ELi8EEEEEEENSF_IJLi5ELi6ELi7ELi8EEEElEENS_31BlockToCTileMap_M00_N0_M01AdaptILi128ELi128ENSM_INS6_IJSS_SU_SU_EEENS6_IJS10_S11_S12_EEENS6_IJS16_S14_S13_EEENSF_IJLi3ELi4EEEElEEiEELb0ELi2EEEvPKT0_PKT1_T2_PT3_T4_T5_T6_T7_T8_T9_T10_T11_
		.amdhsa_group_segment_fixed_size 32768
		.amdhsa_private_segment_fixed_size 0
		.amdhsa_kernarg_size 236
		.amdhsa_user_sgpr_count 6
		.amdhsa_user_sgpr_private_segment_buffer 1
		.amdhsa_user_sgpr_dispatch_ptr 0
		.amdhsa_user_sgpr_queue_ptr 0
		.amdhsa_user_sgpr_kernarg_segment_ptr 1
		.amdhsa_user_sgpr_dispatch_id 0
		.amdhsa_user_sgpr_flat_scratch_init 0
		.amdhsa_user_sgpr_kernarg_preload_length 0
		.amdhsa_user_sgpr_kernarg_preload_offset 0
		.amdhsa_user_sgpr_private_segment_size 0
		.amdhsa_uses_dynamic_stack 0
		.amdhsa_system_sgpr_private_segment_wavefront_offset 0
		.amdhsa_system_sgpr_workgroup_id_x 1
		.amdhsa_system_sgpr_workgroup_id_y 0
		.amdhsa_system_sgpr_workgroup_id_z 0
		.amdhsa_system_sgpr_workgroup_info 0
		.amdhsa_system_vgpr_workitem_id 0
		.amdhsa_next_free_vgpr 102
		.amdhsa_next_free_sgpr 31
		.amdhsa_accum_offset 104
		.amdhsa_reserve_vcc 1
		.amdhsa_reserve_flat_scratch 0
		.amdhsa_float_round_mode_32 0
		.amdhsa_float_round_mode_16_64 0
		.amdhsa_float_denorm_mode_32 3
		.amdhsa_float_denorm_mode_16_64 3
		.amdhsa_dx10_clamp 1
		.amdhsa_ieee_mode 1
		.amdhsa_fp16_overflow 0
		.amdhsa_tg_split 0
		.amdhsa_exception_fp_ieee_invalid_op 0
		.amdhsa_exception_fp_denorm_src 0
		.amdhsa_exception_fp_ieee_div_zero 0
		.amdhsa_exception_fp_ieee_overflow 0
		.amdhsa_exception_fp_ieee_underflow 0
		.amdhsa_exception_fp_ieee_inexact 0
		.amdhsa_exception_int_div_zero 0
	.end_amdhsa_kernel
	.section	.text._ZN2ck51kernel_gemm_multiple_d_xdl_cshuffle_lds_direct_loadINS_48GridwiseGemmMultipleD_Xdl_CShuffle_LdsDirectLoadINS_13tensor_layout4gemm8RowMajorENS3_11ColumnMajorENS_5TupleIJEEES4_ffDB19_ffS7_fNS_16tensor_operation12element_wise11PassThroughESB_SB_LNS_25InMemoryDataOperationEnumE0ELNS9_6device18GemmSpecializationE0ELi1ELi256ELi128ELi128ELi32ELi8ELi8ELi32ELi32ELi2ELi2ENS_8SequenceIJLi4ELi8ELi8EEEENSF_IJLi1ELi0ELi2EEEELi2ELi1ELi1ESG_SH_Li2ELi1ELi1ELi1ELi1ENSF_IJLi1ELi8ELi1ELi8EEEELi4ELNS_13LoopSchedulerE0ELNS_15PipelineVersionE2ES8_EEffS7_fSB_SB_SB_NS_16TensorDescriptorINS6_IJNS_5EmbedINS6_IJiiEEENS6_IJiNS_17integral_constantIiLi1EEEEEELb0EEENS_11PassThroughIiEESU_NS_7UnMergeINS6_IJiNSP_IiLi8EEEEEELb0EEESU_EEENS6_IJNSF_IJLi0EEEENSF_IJLi1EEEENSF_IJLi2EEEENSF_IJLi4EEEENSF_IJLi3EEEEEEENS6_IJNSF_IJLi1ELi2EEEES14_S13_NSF_IJLi5ELi6EEEENSF_IJLi7EEEEEEENSF_IJLi5ELi7ELi6EEEElEES1B_S7_NSM_INS6_IJSS_SU_SU_NSV_INS6_IJiNSP_IiLi128EEEEEELb0EEES1E_EEENS6_IJS10_S11_S12_S14_S13_EEENS6_IJS16_S14_S13_S17_NSF_IJLi7ELi8EEEEEEENSF_IJLi5ELi6ELi7ELi8EEEElEENS_31BlockToCTileMap_M00_N0_M01AdaptILi128ELi128ENSM_INS6_IJSS_SU_SU_EEENS6_IJS10_S11_S12_EEENS6_IJS16_S14_S13_EEENSF_IJLi3ELi4EEEElEEiEELb0ELi2EEEvPKT0_PKT1_T2_PT3_T4_T5_T6_T7_T8_T9_T10_T11_,"axG",@progbits,_ZN2ck51kernel_gemm_multiple_d_xdl_cshuffle_lds_direct_loadINS_48GridwiseGemmMultipleD_Xdl_CShuffle_LdsDirectLoadINS_13tensor_layout4gemm8RowMajorENS3_11ColumnMajorENS_5TupleIJEEES4_ffDB19_ffS7_fNS_16tensor_operation12element_wise11PassThroughESB_SB_LNS_25InMemoryDataOperationEnumE0ELNS9_6device18GemmSpecializationE0ELi1ELi256ELi128ELi128ELi32ELi8ELi8ELi32ELi32ELi2ELi2ENS_8SequenceIJLi4ELi8ELi8EEEENSF_IJLi1ELi0ELi2EEEELi2ELi1ELi1ESG_SH_Li2ELi1ELi1ELi1ELi1ENSF_IJLi1ELi8ELi1ELi8EEEELi4ELNS_13LoopSchedulerE0ELNS_15PipelineVersionE2ES8_EEffS7_fSB_SB_SB_NS_16TensorDescriptorINS6_IJNS_5EmbedINS6_IJiiEEENS6_IJiNS_17integral_constantIiLi1EEEEEELb0EEENS_11PassThroughIiEESU_NS_7UnMergeINS6_IJiNSP_IiLi8EEEEEELb0EEESU_EEENS6_IJNSF_IJLi0EEEENSF_IJLi1EEEENSF_IJLi2EEEENSF_IJLi4EEEENSF_IJLi3EEEEEEENS6_IJNSF_IJLi1ELi2EEEES14_S13_NSF_IJLi5ELi6EEEENSF_IJLi7EEEEEEENSF_IJLi5ELi7ELi6EEEElEES1B_S7_NSM_INS6_IJSS_SU_SU_NSV_INS6_IJiNSP_IiLi128EEEEEELb0EEES1E_EEENS6_IJS10_S11_S12_S14_S13_EEENS6_IJS16_S14_S13_S17_NSF_IJLi7ELi8EEEEEEENSF_IJLi5ELi6ELi7ELi8EEEElEENS_31BlockToCTileMap_M00_N0_M01AdaptILi128ELi128ENSM_INS6_IJSS_SU_SU_EEENS6_IJS10_S11_S12_EEENS6_IJS16_S14_S13_EEENSF_IJLi3ELi4EEEElEEiEELb0ELi2EEEvPKT0_PKT1_T2_PT3_T4_T5_T6_T7_T8_T9_T10_T11_,comdat
.Lfunc_end2:
	.size	_ZN2ck51kernel_gemm_multiple_d_xdl_cshuffle_lds_direct_loadINS_48GridwiseGemmMultipleD_Xdl_CShuffle_LdsDirectLoadINS_13tensor_layout4gemm8RowMajorENS3_11ColumnMajorENS_5TupleIJEEES4_ffDB19_ffS7_fNS_16tensor_operation12element_wise11PassThroughESB_SB_LNS_25InMemoryDataOperationEnumE0ELNS9_6device18GemmSpecializationE0ELi1ELi256ELi128ELi128ELi32ELi8ELi8ELi32ELi32ELi2ELi2ENS_8SequenceIJLi4ELi8ELi8EEEENSF_IJLi1ELi0ELi2EEEELi2ELi1ELi1ESG_SH_Li2ELi1ELi1ELi1ELi1ENSF_IJLi1ELi8ELi1ELi8EEEELi4ELNS_13LoopSchedulerE0ELNS_15PipelineVersionE2ES8_EEffS7_fSB_SB_SB_NS_16TensorDescriptorINS6_IJNS_5EmbedINS6_IJiiEEENS6_IJiNS_17integral_constantIiLi1EEEEEELb0EEENS_11PassThroughIiEESU_NS_7UnMergeINS6_IJiNSP_IiLi8EEEEEELb0EEESU_EEENS6_IJNSF_IJLi0EEEENSF_IJLi1EEEENSF_IJLi2EEEENSF_IJLi4EEEENSF_IJLi3EEEEEEENS6_IJNSF_IJLi1ELi2EEEES14_S13_NSF_IJLi5ELi6EEEENSF_IJLi7EEEEEEENSF_IJLi5ELi7ELi6EEEElEES1B_S7_NSM_INS6_IJSS_SU_SU_NSV_INS6_IJiNSP_IiLi128EEEEEELb0EEES1E_EEENS6_IJS10_S11_S12_S14_S13_EEENS6_IJS16_S14_S13_S17_NSF_IJLi7ELi8EEEEEEENSF_IJLi5ELi6ELi7ELi8EEEElEENS_31BlockToCTileMap_M00_N0_M01AdaptILi128ELi128ENSM_INS6_IJSS_SU_SU_EEENS6_IJS10_S11_S12_EEENS6_IJS16_S14_S13_EEENSF_IJLi3ELi4EEEElEEiEELb0ELi2EEEvPKT0_PKT1_T2_PT3_T4_T5_T6_T7_T8_T9_T10_T11_, .Lfunc_end2-_ZN2ck51kernel_gemm_multiple_d_xdl_cshuffle_lds_direct_loadINS_48GridwiseGemmMultipleD_Xdl_CShuffle_LdsDirectLoadINS_13tensor_layout4gemm8RowMajorENS3_11ColumnMajorENS_5TupleIJEEES4_ffDB19_ffS7_fNS_16tensor_operation12element_wise11PassThroughESB_SB_LNS_25InMemoryDataOperationEnumE0ELNS9_6device18GemmSpecializationE0ELi1ELi256ELi128ELi128ELi32ELi8ELi8ELi32ELi32ELi2ELi2ENS_8SequenceIJLi4ELi8ELi8EEEENSF_IJLi1ELi0ELi2EEEELi2ELi1ELi1ESG_SH_Li2ELi1ELi1ELi1ELi1ENSF_IJLi1ELi8ELi1ELi8EEEELi4ELNS_13LoopSchedulerE0ELNS_15PipelineVersionE2ES8_EEffS7_fSB_SB_SB_NS_16TensorDescriptorINS6_IJNS_5EmbedINS6_IJiiEEENS6_IJiNS_17integral_constantIiLi1EEEEEELb0EEENS_11PassThroughIiEESU_NS_7UnMergeINS6_IJiNSP_IiLi8EEEEEELb0EEESU_EEENS6_IJNSF_IJLi0EEEENSF_IJLi1EEEENSF_IJLi2EEEENSF_IJLi4EEEENSF_IJLi3EEEEEEENS6_IJNSF_IJLi1ELi2EEEES14_S13_NSF_IJLi5ELi6EEEENSF_IJLi7EEEEEEENSF_IJLi5ELi7ELi6EEEElEES1B_S7_NSM_INS6_IJSS_SU_SU_NSV_INS6_IJiNSP_IiLi128EEEEEELb0EEES1E_EEENS6_IJS10_S11_S12_S14_S13_EEENS6_IJS16_S14_S13_S17_NSF_IJLi7ELi8EEEEEEENSF_IJLi5ELi6ELi7ELi8EEEElEENS_31BlockToCTileMap_M00_N0_M01AdaptILi128ELi128ENSM_INS6_IJSS_SU_SU_EEENS6_IJS10_S11_S12_EEENS6_IJS16_S14_S13_EEENSF_IJLi3ELi4EEEElEEiEELb0ELi2EEEvPKT0_PKT1_T2_PT3_T4_T5_T6_T7_T8_T9_T10_T11_
                                        ; -- End function
	.section	.AMDGPU.csdata,"",@progbits
; Kernel info:
; codeLenInByte = 4660
; NumSgprs: 35
; NumVgprs: 102
; NumAgprs: 0
; TotalNumVgprs: 102
; ScratchSize: 0
; MemoryBound: 0
; FloatMode: 240
; IeeeMode: 1
; LDSByteSize: 32768 bytes/workgroup (compile time only)
; SGPRBlocks: 4
; VGPRBlocks: 12
; NumSGPRsForWavesPerEU: 35
; NumVGPRsForWavesPerEU: 102
; AccumOffset: 104
; Occupancy: 2
; WaveLimiterHint : 0
; COMPUTE_PGM_RSRC2:SCRATCH_EN: 0
; COMPUTE_PGM_RSRC2:USER_SGPR: 6
; COMPUTE_PGM_RSRC2:TRAP_HANDLER: 0
; COMPUTE_PGM_RSRC2:TGID_X_EN: 1
; COMPUTE_PGM_RSRC2:TGID_Y_EN: 0
; COMPUTE_PGM_RSRC2:TGID_Z_EN: 0
; COMPUTE_PGM_RSRC2:TIDIG_COMP_CNT: 0
; COMPUTE_PGM_RSRC3_GFX90A:ACCUM_OFFSET: 25
; COMPUTE_PGM_RSRC3_GFX90A:TG_SPLIT: 0
	.section	.text._ZN2ck51kernel_gemm_multiple_d_xdl_cshuffle_lds_direct_loadINS_48GridwiseGemmMultipleD_Xdl_CShuffle_LdsDirectLoadINS_13tensor_layout4gemm8RowMajorENS3_11ColumnMajorENS_5TupleIJEEES4_ffDB19_ffS7_fNS_16tensor_operation12element_wise11PassThroughESB_SB_LNS_25InMemoryDataOperationEnumE0ELNS9_6device18GemmSpecializationE0ELi1ELi256ELi128ELi128ELi32ELi8ELi8ELi16ELi16ELi4ELi2ENS_8SequenceIJLi4ELi8ELi8EEEENSF_IJLi1ELi0ELi2EEEELi2ELi1ELi1ESG_SH_Li2ELi1ELi1ELi2ELi2ENSF_IJLi1ELi8ELi1ELi8EEEELi4ELNS_13LoopSchedulerE0ELNS_15PipelineVersionE2ES8_EEffS7_fSB_SB_SB_NS_16TensorDescriptorINS6_IJNS_5EmbedINS6_IJiiEEENS6_IJiNS_17integral_constantIiLi1EEEEEELb0EEENS_11PassThroughIiEESU_NS_7UnMergeINS6_IJiNSP_IiLi8EEEEEELb0EEESU_EEENS6_IJNSF_IJLi0EEEENSF_IJLi1EEEENSF_IJLi2EEEENSF_IJLi4EEEENSF_IJLi3EEEEEEENS6_IJNSF_IJLi1ELi2EEEES14_S13_NSF_IJLi5ELi6EEEENSF_IJLi7EEEEEEENSF_IJLi5ELi7ELi6EEEElEES1B_S7_NSM_INS6_IJSS_SU_SU_NSV_INS6_IJiNSP_IiLi128EEEEEELb0EEES1E_EEENS6_IJS10_S11_S12_S14_S13_EEENS6_IJS16_S14_S13_S17_NSF_IJLi7ELi8EEEEEEENSF_IJLi5ELi6ELi7ELi8EEEElEENS_31BlockToCTileMap_M00_N0_M01AdaptILi128ELi128ENSM_INS6_IJSS_SU_SU_EEENS6_IJS10_S11_S12_EEENS6_IJS16_S14_S13_EEENSF_IJLi3ELi4EEEElEEiEELb1ELi2EEEvPKT0_PKT1_T2_PT3_T4_T5_T6_T7_T8_T9_T10_T11_,"axG",@progbits,_ZN2ck51kernel_gemm_multiple_d_xdl_cshuffle_lds_direct_loadINS_48GridwiseGemmMultipleD_Xdl_CShuffle_LdsDirectLoadINS_13tensor_layout4gemm8RowMajorENS3_11ColumnMajorENS_5TupleIJEEES4_ffDB19_ffS7_fNS_16tensor_operation12element_wise11PassThroughESB_SB_LNS_25InMemoryDataOperationEnumE0ELNS9_6device18GemmSpecializationE0ELi1ELi256ELi128ELi128ELi32ELi8ELi8ELi16ELi16ELi4ELi2ENS_8SequenceIJLi4ELi8ELi8EEEENSF_IJLi1ELi0ELi2EEEELi2ELi1ELi1ESG_SH_Li2ELi1ELi1ELi2ELi2ENSF_IJLi1ELi8ELi1ELi8EEEELi4ELNS_13LoopSchedulerE0ELNS_15PipelineVersionE2ES8_EEffS7_fSB_SB_SB_NS_16TensorDescriptorINS6_IJNS_5EmbedINS6_IJiiEEENS6_IJiNS_17integral_constantIiLi1EEEEEELb0EEENS_11PassThroughIiEESU_NS_7UnMergeINS6_IJiNSP_IiLi8EEEEEELb0EEESU_EEENS6_IJNSF_IJLi0EEEENSF_IJLi1EEEENSF_IJLi2EEEENSF_IJLi4EEEENSF_IJLi3EEEEEEENS6_IJNSF_IJLi1ELi2EEEES14_S13_NSF_IJLi5ELi6EEEENSF_IJLi7EEEEEEENSF_IJLi5ELi7ELi6EEEElEES1B_S7_NSM_INS6_IJSS_SU_SU_NSV_INS6_IJiNSP_IiLi128EEEEEELb0EEES1E_EEENS6_IJS10_S11_S12_S14_S13_EEENS6_IJS16_S14_S13_S17_NSF_IJLi7ELi8EEEEEEENSF_IJLi5ELi6ELi7ELi8EEEElEENS_31BlockToCTileMap_M00_N0_M01AdaptILi128ELi128ENSM_INS6_IJSS_SU_SU_EEENS6_IJS10_S11_S12_EEENS6_IJS16_S14_S13_EEENSF_IJLi3ELi4EEEElEEiEELb1ELi2EEEvPKT0_PKT1_T2_PT3_T4_T5_T6_T7_T8_T9_T10_T11_,comdat
	.protected	_ZN2ck51kernel_gemm_multiple_d_xdl_cshuffle_lds_direct_loadINS_48GridwiseGemmMultipleD_Xdl_CShuffle_LdsDirectLoadINS_13tensor_layout4gemm8RowMajorENS3_11ColumnMajorENS_5TupleIJEEES4_ffDB19_ffS7_fNS_16tensor_operation12element_wise11PassThroughESB_SB_LNS_25InMemoryDataOperationEnumE0ELNS9_6device18GemmSpecializationE0ELi1ELi256ELi128ELi128ELi32ELi8ELi8ELi16ELi16ELi4ELi2ENS_8SequenceIJLi4ELi8ELi8EEEENSF_IJLi1ELi0ELi2EEEELi2ELi1ELi1ESG_SH_Li2ELi1ELi1ELi2ELi2ENSF_IJLi1ELi8ELi1ELi8EEEELi4ELNS_13LoopSchedulerE0ELNS_15PipelineVersionE2ES8_EEffS7_fSB_SB_SB_NS_16TensorDescriptorINS6_IJNS_5EmbedINS6_IJiiEEENS6_IJiNS_17integral_constantIiLi1EEEEEELb0EEENS_11PassThroughIiEESU_NS_7UnMergeINS6_IJiNSP_IiLi8EEEEEELb0EEESU_EEENS6_IJNSF_IJLi0EEEENSF_IJLi1EEEENSF_IJLi2EEEENSF_IJLi4EEEENSF_IJLi3EEEEEEENS6_IJNSF_IJLi1ELi2EEEES14_S13_NSF_IJLi5ELi6EEEENSF_IJLi7EEEEEEENSF_IJLi5ELi7ELi6EEEElEES1B_S7_NSM_INS6_IJSS_SU_SU_NSV_INS6_IJiNSP_IiLi128EEEEEELb0EEES1E_EEENS6_IJS10_S11_S12_S14_S13_EEENS6_IJS16_S14_S13_S17_NSF_IJLi7ELi8EEEEEEENSF_IJLi5ELi6ELi7ELi8EEEElEENS_31BlockToCTileMap_M00_N0_M01AdaptILi128ELi128ENSM_INS6_IJSS_SU_SU_EEENS6_IJS10_S11_S12_EEENS6_IJS16_S14_S13_EEENSF_IJLi3ELi4EEEElEEiEELb1ELi2EEEvPKT0_PKT1_T2_PT3_T4_T5_T6_T7_T8_T9_T10_T11_ ; -- Begin function _ZN2ck51kernel_gemm_multiple_d_xdl_cshuffle_lds_direct_loadINS_48GridwiseGemmMultipleD_Xdl_CShuffle_LdsDirectLoadINS_13tensor_layout4gemm8RowMajorENS3_11ColumnMajorENS_5TupleIJEEES4_ffDB19_ffS7_fNS_16tensor_operation12element_wise11PassThroughESB_SB_LNS_25InMemoryDataOperationEnumE0ELNS9_6device18GemmSpecializationE0ELi1ELi256ELi128ELi128ELi32ELi8ELi8ELi16ELi16ELi4ELi2ENS_8SequenceIJLi4ELi8ELi8EEEENSF_IJLi1ELi0ELi2EEEELi2ELi1ELi1ESG_SH_Li2ELi1ELi1ELi2ELi2ENSF_IJLi1ELi8ELi1ELi8EEEELi4ELNS_13LoopSchedulerE0ELNS_15PipelineVersionE2ES8_EEffS7_fSB_SB_SB_NS_16TensorDescriptorINS6_IJNS_5EmbedINS6_IJiiEEENS6_IJiNS_17integral_constantIiLi1EEEEEELb0EEENS_11PassThroughIiEESU_NS_7UnMergeINS6_IJiNSP_IiLi8EEEEEELb0EEESU_EEENS6_IJNSF_IJLi0EEEENSF_IJLi1EEEENSF_IJLi2EEEENSF_IJLi4EEEENSF_IJLi3EEEEEEENS6_IJNSF_IJLi1ELi2EEEES14_S13_NSF_IJLi5ELi6EEEENSF_IJLi7EEEEEEENSF_IJLi5ELi7ELi6EEEElEES1B_S7_NSM_INS6_IJSS_SU_SU_NSV_INS6_IJiNSP_IiLi128EEEEEELb0EEES1E_EEENS6_IJS10_S11_S12_S14_S13_EEENS6_IJS16_S14_S13_S17_NSF_IJLi7ELi8EEEEEEENSF_IJLi5ELi6ELi7ELi8EEEElEENS_31BlockToCTileMap_M00_N0_M01AdaptILi128ELi128ENSM_INS6_IJSS_SU_SU_EEENS6_IJS10_S11_S12_EEENS6_IJS16_S14_S13_EEENSF_IJLi3ELi4EEEElEEiEELb1ELi2EEEvPKT0_PKT1_T2_PT3_T4_T5_T6_T7_T8_T9_T10_T11_
	.globl	_ZN2ck51kernel_gemm_multiple_d_xdl_cshuffle_lds_direct_loadINS_48GridwiseGemmMultipleD_Xdl_CShuffle_LdsDirectLoadINS_13tensor_layout4gemm8RowMajorENS3_11ColumnMajorENS_5TupleIJEEES4_ffDB19_ffS7_fNS_16tensor_operation12element_wise11PassThroughESB_SB_LNS_25InMemoryDataOperationEnumE0ELNS9_6device18GemmSpecializationE0ELi1ELi256ELi128ELi128ELi32ELi8ELi8ELi16ELi16ELi4ELi2ENS_8SequenceIJLi4ELi8ELi8EEEENSF_IJLi1ELi0ELi2EEEELi2ELi1ELi1ESG_SH_Li2ELi1ELi1ELi2ELi2ENSF_IJLi1ELi8ELi1ELi8EEEELi4ELNS_13LoopSchedulerE0ELNS_15PipelineVersionE2ES8_EEffS7_fSB_SB_SB_NS_16TensorDescriptorINS6_IJNS_5EmbedINS6_IJiiEEENS6_IJiNS_17integral_constantIiLi1EEEEEELb0EEENS_11PassThroughIiEESU_NS_7UnMergeINS6_IJiNSP_IiLi8EEEEEELb0EEESU_EEENS6_IJNSF_IJLi0EEEENSF_IJLi1EEEENSF_IJLi2EEEENSF_IJLi4EEEENSF_IJLi3EEEEEEENS6_IJNSF_IJLi1ELi2EEEES14_S13_NSF_IJLi5ELi6EEEENSF_IJLi7EEEEEEENSF_IJLi5ELi7ELi6EEEElEES1B_S7_NSM_INS6_IJSS_SU_SU_NSV_INS6_IJiNSP_IiLi128EEEEEELb0EEES1E_EEENS6_IJS10_S11_S12_S14_S13_EEENS6_IJS16_S14_S13_S17_NSF_IJLi7ELi8EEEEEEENSF_IJLi5ELi6ELi7ELi8EEEElEENS_31BlockToCTileMap_M00_N0_M01AdaptILi128ELi128ENSM_INS6_IJSS_SU_SU_EEENS6_IJS10_S11_S12_EEENS6_IJS16_S14_S13_EEENSF_IJLi3ELi4EEEElEEiEELb1ELi2EEEvPKT0_PKT1_T2_PT3_T4_T5_T6_T7_T8_T9_T10_T11_
	.p2align	8
	.type	_ZN2ck51kernel_gemm_multiple_d_xdl_cshuffle_lds_direct_loadINS_48GridwiseGemmMultipleD_Xdl_CShuffle_LdsDirectLoadINS_13tensor_layout4gemm8RowMajorENS3_11ColumnMajorENS_5TupleIJEEES4_ffDB19_ffS7_fNS_16tensor_operation12element_wise11PassThroughESB_SB_LNS_25InMemoryDataOperationEnumE0ELNS9_6device18GemmSpecializationE0ELi1ELi256ELi128ELi128ELi32ELi8ELi8ELi16ELi16ELi4ELi2ENS_8SequenceIJLi4ELi8ELi8EEEENSF_IJLi1ELi0ELi2EEEELi2ELi1ELi1ESG_SH_Li2ELi1ELi1ELi2ELi2ENSF_IJLi1ELi8ELi1ELi8EEEELi4ELNS_13LoopSchedulerE0ELNS_15PipelineVersionE2ES8_EEffS7_fSB_SB_SB_NS_16TensorDescriptorINS6_IJNS_5EmbedINS6_IJiiEEENS6_IJiNS_17integral_constantIiLi1EEEEEELb0EEENS_11PassThroughIiEESU_NS_7UnMergeINS6_IJiNSP_IiLi8EEEEEELb0EEESU_EEENS6_IJNSF_IJLi0EEEENSF_IJLi1EEEENSF_IJLi2EEEENSF_IJLi4EEEENSF_IJLi3EEEEEEENS6_IJNSF_IJLi1ELi2EEEES14_S13_NSF_IJLi5ELi6EEEENSF_IJLi7EEEEEEENSF_IJLi5ELi7ELi6EEEElEES1B_S7_NSM_INS6_IJSS_SU_SU_NSV_INS6_IJiNSP_IiLi128EEEEEELb0EEES1E_EEENS6_IJS10_S11_S12_S14_S13_EEENS6_IJS16_S14_S13_S17_NSF_IJLi7ELi8EEEEEEENSF_IJLi5ELi6ELi7ELi8EEEElEENS_31BlockToCTileMap_M00_N0_M01AdaptILi128ELi128ENSM_INS6_IJSS_SU_SU_EEENS6_IJS10_S11_S12_EEENS6_IJS16_S14_S13_EEENSF_IJLi3ELi4EEEElEEiEELb1ELi2EEEvPKT0_PKT1_T2_PT3_T4_T5_T6_T7_T8_T9_T10_T11_,@function
_ZN2ck51kernel_gemm_multiple_d_xdl_cshuffle_lds_direct_loadINS_48GridwiseGemmMultipleD_Xdl_CShuffle_LdsDirectLoadINS_13tensor_layout4gemm8RowMajorENS3_11ColumnMajorENS_5TupleIJEEES4_ffDB19_ffS7_fNS_16tensor_operation12element_wise11PassThroughESB_SB_LNS_25InMemoryDataOperationEnumE0ELNS9_6device18GemmSpecializationE0ELi1ELi256ELi128ELi128ELi32ELi8ELi8ELi16ELi16ELi4ELi2ENS_8SequenceIJLi4ELi8ELi8EEEENSF_IJLi1ELi0ELi2EEEELi2ELi1ELi1ESG_SH_Li2ELi1ELi1ELi2ELi2ENSF_IJLi1ELi8ELi1ELi8EEEELi4ELNS_13LoopSchedulerE0ELNS_15PipelineVersionE2ES8_EEffS7_fSB_SB_SB_NS_16TensorDescriptorINS6_IJNS_5EmbedINS6_IJiiEEENS6_IJiNS_17integral_constantIiLi1EEEEEELb0EEENS_11PassThroughIiEESU_NS_7UnMergeINS6_IJiNSP_IiLi8EEEEEELb0EEESU_EEENS6_IJNSF_IJLi0EEEENSF_IJLi1EEEENSF_IJLi2EEEENSF_IJLi4EEEENSF_IJLi3EEEEEEENS6_IJNSF_IJLi1ELi2EEEES14_S13_NSF_IJLi5ELi6EEEENSF_IJLi7EEEEEEENSF_IJLi5ELi7ELi6EEEElEES1B_S7_NSM_INS6_IJSS_SU_SU_NSV_INS6_IJiNSP_IiLi128EEEEEELb0EEES1E_EEENS6_IJS10_S11_S12_S14_S13_EEENS6_IJS16_S14_S13_S17_NSF_IJLi7ELi8EEEEEEENSF_IJLi5ELi6ELi7ELi8EEEElEENS_31BlockToCTileMap_M00_N0_M01AdaptILi128ELi128ENSM_INS6_IJSS_SU_SU_EEENS6_IJS10_S11_S12_EEENS6_IJS16_S14_S13_EEENSF_IJLi3ELi4EEEElEEiEELb1ELi2EEEvPKT0_PKT1_T2_PT3_T4_T5_T6_T7_T8_T9_T10_T11_: ; @_ZN2ck51kernel_gemm_multiple_d_xdl_cshuffle_lds_direct_loadINS_48GridwiseGemmMultipleD_Xdl_CShuffle_LdsDirectLoadINS_13tensor_layout4gemm8RowMajorENS3_11ColumnMajorENS_5TupleIJEEES4_ffDB19_ffS7_fNS_16tensor_operation12element_wise11PassThroughESB_SB_LNS_25InMemoryDataOperationEnumE0ELNS9_6device18GemmSpecializationE0ELi1ELi256ELi128ELi128ELi32ELi8ELi8ELi16ELi16ELi4ELi2ENS_8SequenceIJLi4ELi8ELi8EEEENSF_IJLi1ELi0ELi2EEEELi2ELi1ELi1ESG_SH_Li2ELi1ELi1ELi2ELi2ENSF_IJLi1ELi8ELi1ELi8EEEELi4ELNS_13LoopSchedulerE0ELNS_15PipelineVersionE2ES8_EEffS7_fSB_SB_SB_NS_16TensorDescriptorINS6_IJNS_5EmbedINS6_IJiiEEENS6_IJiNS_17integral_constantIiLi1EEEEEELb0EEENS_11PassThroughIiEESU_NS_7UnMergeINS6_IJiNSP_IiLi8EEEEEELb0EEESU_EEENS6_IJNSF_IJLi0EEEENSF_IJLi1EEEENSF_IJLi2EEEENSF_IJLi4EEEENSF_IJLi3EEEEEEENS6_IJNSF_IJLi1ELi2EEEES14_S13_NSF_IJLi5ELi6EEEENSF_IJLi7EEEEEEENSF_IJLi5ELi7ELi6EEEElEES1B_S7_NSM_INS6_IJSS_SU_SU_NSV_INS6_IJiNSP_IiLi128EEEEEELb0EEES1E_EEENS6_IJS10_S11_S12_S14_S13_EEENS6_IJS16_S14_S13_S17_NSF_IJLi7ELi8EEEEEEENSF_IJLi5ELi6ELi7ELi8EEEElEENS_31BlockToCTileMap_M00_N0_M01AdaptILi128ELi128ENSM_INS6_IJSS_SU_SU_EEENS6_IJS10_S11_S12_EEENS6_IJS16_S14_S13_EEENSF_IJLi3ELi4EEEElEEiEELb1ELi2EEEvPKT0_PKT1_T2_PT3_T4_T5_T6_T7_T8_T9_T10_T11_
; %bb.0:
	s_endpgm
	.section	.rodata,"a",@progbits
	.p2align	6, 0x0
	.amdhsa_kernel _ZN2ck51kernel_gemm_multiple_d_xdl_cshuffle_lds_direct_loadINS_48GridwiseGemmMultipleD_Xdl_CShuffle_LdsDirectLoadINS_13tensor_layout4gemm8RowMajorENS3_11ColumnMajorENS_5TupleIJEEES4_ffDB19_ffS7_fNS_16tensor_operation12element_wise11PassThroughESB_SB_LNS_25InMemoryDataOperationEnumE0ELNS9_6device18GemmSpecializationE0ELi1ELi256ELi128ELi128ELi32ELi8ELi8ELi16ELi16ELi4ELi2ENS_8SequenceIJLi4ELi8ELi8EEEENSF_IJLi1ELi0ELi2EEEELi2ELi1ELi1ESG_SH_Li2ELi1ELi1ELi2ELi2ENSF_IJLi1ELi8ELi1ELi8EEEELi4ELNS_13LoopSchedulerE0ELNS_15PipelineVersionE2ES8_EEffS7_fSB_SB_SB_NS_16TensorDescriptorINS6_IJNS_5EmbedINS6_IJiiEEENS6_IJiNS_17integral_constantIiLi1EEEEEELb0EEENS_11PassThroughIiEESU_NS_7UnMergeINS6_IJiNSP_IiLi8EEEEEELb0EEESU_EEENS6_IJNSF_IJLi0EEEENSF_IJLi1EEEENSF_IJLi2EEEENSF_IJLi4EEEENSF_IJLi3EEEEEEENS6_IJNSF_IJLi1ELi2EEEES14_S13_NSF_IJLi5ELi6EEEENSF_IJLi7EEEEEEENSF_IJLi5ELi7ELi6EEEElEES1B_S7_NSM_INS6_IJSS_SU_SU_NSV_INS6_IJiNSP_IiLi128EEEEEELb0EEES1E_EEENS6_IJS10_S11_S12_S14_S13_EEENS6_IJS16_S14_S13_S17_NSF_IJLi7ELi8EEEEEEENSF_IJLi5ELi6ELi7ELi8EEEElEENS_31BlockToCTileMap_M00_N0_M01AdaptILi128ELi128ENSM_INS6_IJSS_SU_SU_EEENS6_IJS10_S11_S12_EEENS6_IJS16_S14_S13_EEENSF_IJLi3ELi4EEEElEEiEELb1ELi2EEEvPKT0_PKT1_T2_PT3_T4_T5_T6_T7_T8_T9_T10_T11_
		.amdhsa_group_segment_fixed_size 0
		.amdhsa_private_segment_fixed_size 0
		.amdhsa_kernarg_size 236
		.amdhsa_user_sgpr_count 6
		.amdhsa_user_sgpr_private_segment_buffer 1
		.amdhsa_user_sgpr_dispatch_ptr 0
		.amdhsa_user_sgpr_queue_ptr 0
		.amdhsa_user_sgpr_kernarg_segment_ptr 1
		.amdhsa_user_sgpr_dispatch_id 0
		.amdhsa_user_sgpr_flat_scratch_init 0
		.amdhsa_user_sgpr_kernarg_preload_length 0
		.amdhsa_user_sgpr_kernarg_preload_offset 0
		.amdhsa_user_sgpr_private_segment_size 0
		.amdhsa_uses_dynamic_stack 0
		.amdhsa_system_sgpr_private_segment_wavefront_offset 0
		.amdhsa_system_sgpr_workgroup_id_x 1
		.amdhsa_system_sgpr_workgroup_id_y 0
		.amdhsa_system_sgpr_workgroup_id_z 0
		.amdhsa_system_sgpr_workgroup_info 0
		.amdhsa_system_vgpr_workitem_id 0
		.amdhsa_next_free_vgpr 1
		.amdhsa_next_free_sgpr 0
		.amdhsa_accum_offset 4
		.amdhsa_reserve_vcc 0
		.amdhsa_reserve_flat_scratch 0
		.amdhsa_float_round_mode_32 0
		.amdhsa_float_round_mode_16_64 0
		.amdhsa_float_denorm_mode_32 3
		.amdhsa_float_denorm_mode_16_64 3
		.amdhsa_dx10_clamp 1
		.amdhsa_ieee_mode 1
		.amdhsa_fp16_overflow 0
		.amdhsa_tg_split 0
		.amdhsa_exception_fp_ieee_invalid_op 0
		.amdhsa_exception_fp_denorm_src 0
		.amdhsa_exception_fp_ieee_div_zero 0
		.amdhsa_exception_fp_ieee_overflow 0
		.amdhsa_exception_fp_ieee_underflow 0
		.amdhsa_exception_fp_ieee_inexact 0
		.amdhsa_exception_int_div_zero 0
	.end_amdhsa_kernel
	.section	.text._ZN2ck51kernel_gemm_multiple_d_xdl_cshuffle_lds_direct_loadINS_48GridwiseGemmMultipleD_Xdl_CShuffle_LdsDirectLoadINS_13tensor_layout4gemm8RowMajorENS3_11ColumnMajorENS_5TupleIJEEES4_ffDB19_ffS7_fNS_16tensor_operation12element_wise11PassThroughESB_SB_LNS_25InMemoryDataOperationEnumE0ELNS9_6device18GemmSpecializationE0ELi1ELi256ELi128ELi128ELi32ELi8ELi8ELi16ELi16ELi4ELi2ENS_8SequenceIJLi4ELi8ELi8EEEENSF_IJLi1ELi0ELi2EEEELi2ELi1ELi1ESG_SH_Li2ELi1ELi1ELi2ELi2ENSF_IJLi1ELi8ELi1ELi8EEEELi4ELNS_13LoopSchedulerE0ELNS_15PipelineVersionE2ES8_EEffS7_fSB_SB_SB_NS_16TensorDescriptorINS6_IJNS_5EmbedINS6_IJiiEEENS6_IJiNS_17integral_constantIiLi1EEEEEELb0EEENS_11PassThroughIiEESU_NS_7UnMergeINS6_IJiNSP_IiLi8EEEEEELb0EEESU_EEENS6_IJNSF_IJLi0EEEENSF_IJLi1EEEENSF_IJLi2EEEENSF_IJLi4EEEENSF_IJLi3EEEEEEENS6_IJNSF_IJLi1ELi2EEEES14_S13_NSF_IJLi5ELi6EEEENSF_IJLi7EEEEEEENSF_IJLi5ELi7ELi6EEEElEES1B_S7_NSM_INS6_IJSS_SU_SU_NSV_INS6_IJiNSP_IiLi128EEEEEELb0EEES1E_EEENS6_IJS10_S11_S12_S14_S13_EEENS6_IJS16_S14_S13_S17_NSF_IJLi7ELi8EEEEEEENSF_IJLi5ELi6ELi7ELi8EEEElEENS_31BlockToCTileMap_M00_N0_M01AdaptILi128ELi128ENSM_INS6_IJSS_SU_SU_EEENS6_IJS10_S11_S12_EEENS6_IJS16_S14_S13_EEENSF_IJLi3ELi4EEEElEEiEELb1ELi2EEEvPKT0_PKT1_T2_PT3_T4_T5_T6_T7_T8_T9_T10_T11_,"axG",@progbits,_ZN2ck51kernel_gemm_multiple_d_xdl_cshuffle_lds_direct_loadINS_48GridwiseGemmMultipleD_Xdl_CShuffle_LdsDirectLoadINS_13tensor_layout4gemm8RowMajorENS3_11ColumnMajorENS_5TupleIJEEES4_ffDB19_ffS7_fNS_16tensor_operation12element_wise11PassThroughESB_SB_LNS_25InMemoryDataOperationEnumE0ELNS9_6device18GemmSpecializationE0ELi1ELi256ELi128ELi128ELi32ELi8ELi8ELi16ELi16ELi4ELi2ENS_8SequenceIJLi4ELi8ELi8EEEENSF_IJLi1ELi0ELi2EEEELi2ELi1ELi1ESG_SH_Li2ELi1ELi1ELi2ELi2ENSF_IJLi1ELi8ELi1ELi8EEEELi4ELNS_13LoopSchedulerE0ELNS_15PipelineVersionE2ES8_EEffS7_fSB_SB_SB_NS_16TensorDescriptorINS6_IJNS_5EmbedINS6_IJiiEEENS6_IJiNS_17integral_constantIiLi1EEEEEELb0EEENS_11PassThroughIiEESU_NS_7UnMergeINS6_IJiNSP_IiLi8EEEEEELb0EEESU_EEENS6_IJNSF_IJLi0EEEENSF_IJLi1EEEENSF_IJLi2EEEENSF_IJLi4EEEENSF_IJLi3EEEEEEENS6_IJNSF_IJLi1ELi2EEEES14_S13_NSF_IJLi5ELi6EEEENSF_IJLi7EEEEEEENSF_IJLi5ELi7ELi6EEEElEES1B_S7_NSM_INS6_IJSS_SU_SU_NSV_INS6_IJiNSP_IiLi128EEEEEELb0EEES1E_EEENS6_IJS10_S11_S12_S14_S13_EEENS6_IJS16_S14_S13_S17_NSF_IJLi7ELi8EEEEEEENSF_IJLi5ELi6ELi7ELi8EEEElEENS_31BlockToCTileMap_M00_N0_M01AdaptILi128ELi128ENSM_INS6_IJSS_SU_SU_EEENS6_IJS10_S11_S12_EEENS6_IJS16_S14_S13_EEENSF_IJLi3ELi4EEEElEEiEELb1ELi2EEEvPKT0_PKT1_T2_PT3_T4_T5_T6_T7_T8_T9_T10_T11_,comdat
.Lfunc_end3:
	.size	_ZN2ck51kernel_gemm_multiple_d_xdl_cshuffle_lds_direct_loadINS_48GridwiseGemmMultipleD_Xdl_CShuffle_LdsDirectLoadINS_13tensor_layout4gemm8RowMajorENS3_11ColumnMajorENS_5TupleIJEEES4_ffDB19_ffS7_fNS_16tensor_operation12element_wise11PassThroughESB_SB_LNS_25InMemoryDataOperationEnumE0ELNS9_6device18GemmSpecializationE0ELi1ELi256ELi128ELi128ELi32ELi8ELi8ELi16ELi16ELi4ELi2ENS_8SequenceIJLi4ELi8ELi8EEEENSF_IJLi1ELi0ELi2EEEELi2ELi1ELi1ESG_SH_Li2ELi1ELi1ELi2ELi2ENSF_IJLi1ELi8ELi1ELi8EEEELi4ELNS_13LoopSchedulerE0ELNS_15PipelineVersionE2ES8_EEffS7_fSB_SB_SB_NS_16TensorDescriptorINS6_IJNS_5EmbedINS6_IJiiEEENS6_IJiNS_17integral_constantIiLi1EEEEEELb0EEENS_11PassThroughIiEESU_NS_7UnMergeINS6_IJiNSP_IiLi8EEEEEELb0EEESU_EEENS6_IJNSF_IJLi0EEEENSF_IJLi1EEEENSF_IJLi2EEEENSF_IJLi4EEEENSF_IJLi3EEEEEEENS6_IJNSF_IJLi1ELi2EEEES14_S13_NSF_IJLi5ELi6EEEENSF_IJLi7EEEEEEENSF_IJLi5ELi7ELi6EEEElEES1B_S7_NSM_INS6_IJSS_SU_SU_NSV_INS6_IJiNSP_IiLi128EEEEEELb0EEES1E_EEENS6_IJS10_S11_S12_S14_S13_EEENS6_IJS16_S14_S13_S17_NSF_IJLi7ELi8EEEEEEENSF_IJLi5ELi6ELi7ELi8EEEElEENS_31BlockToCTileMap_M00_N0_M01AdaptILi128ELi128ENSM_INS6_IJSS_SU_SU_EEENS6_IJS10_S11_S12_EEENS6_IJS16_S14_S13_EEENSF_IJLi3ELi4EEEElEEiEELb1ELi2EEEvPKT0_PKT1_T2_PT3_T4_T5_T6_T7_T8_T9_T10_T11_, .Lfunc_end3-_ZN2ck51kernel_gemm_multiple_d_xdl_cshuffle_lds_direct_loadINS_48GridwiseGemmMultipleD_Xdl_CShuffle_LdsDirectLoadINS_13tensor_layout4gemm8RowMajorENS3_11ColumnMajorENS_5TupleIJEEES4_ffDB19_ffS7_fNS_16tensor_operation12element_wise11PassThroughESB_SB_LNS_25InMemoryDataOperationEnumE0ELNS9_6device18GemmSpecializationE0ELi1ELi256ELi128ELi128ELi32ELi8ELi8ELi16ELi16ELi4ELi2ENS_8SequenceIJLi4ELi8ELi8EEEENSF_IJLi1ELi0ELi2EEEELi2ELi1ELi1ESG_SH_Li2ELi1ELi1ELi2ELi2ENSF_IJLi1ELi8ELi1ELi8EEEELi4ELNS_13LoopSchedulerE0ELNS_15PipelineVersionE2ES8_EEffS7_fSB_SB_SB_NS_16TensorDescriptorINS6_IJNS_5EmbedINS6_IJiiEEENS6_IJiNS_17integral_constantIiLi1EEEEEELb0EEENS_11PassThroughIiEESU_NS_7UnMergeINS6_IJiNSP_IiLi8EEEEEELb0EEESU_EEENS6_IJNSF_IJLi0EEEENSF_IJLi1EEEENSF_IJLi2EEEENSF_IJLi4EEEENSF_IJLi3EEEEEEENS6_IJNSF_IJLi1ELi2EEEES14_S13_NSF_IJLi5ELi6EEEENSF_IJLi7EEEEEEENSF_IJLi5ELi7ELi6EEEElEES1B_S7_NSM_INS6_IJSS_SU_SU_NSV_INS6_IJiNSP_IiLi128EEEEEELb0EEES1E_EEENS6_IJS10_S11_S12_S14_S13_EEENS6_IJS16_S14_S13_S17_NSF_IJLi7ELi8EEEEEEENSF_IJLi5ELi6ELi7ELi8EEEElEENS_31BlockToCTileMap_M00_N0_M01AdaptILi128ELi128ENSM_INS6_IJSS_SU_SU_EEENS6_IJS10_S11_S12_EEENS6_IJS16_S14_S13_EEENSF_IJLi3ELi4EEEElEEiEELb1ELi2EEEvPKT0_PKT1_T2_PT3_T4_T5_T6_T7_T8_T9_T10_T11_
                                        ; -- End function
	.section	.AMDGPU.csdata,"",@progbits
; Kernel info:
; codeLenInByte = 4
; NumSgprs: 4
; NumVgprs: 0
; NumAgprs: 0
; TotalNumVgprs: 0
; ScratchSize: 0
; MemoryBound: 0
; FloatMode: 240
; IeeeMode: 1
; LDSByteSize: 0 bytes/workgroup (compile time only)
; SGPRBlocks: 0
; VGPRBlocks: 0
; NumSGPRsForWavesPerEU: 4
; NumVGPRsForWavesPerEU: 1
; AccumOffset: 4
; Occupancy: 8
; WaveLimiterHint : 0
; COMPUTE_PGM_RSRC2:SCRATCH_EN: 0
; COMPUTE_PGM_RSRC2:USER_SGPR: 6
; COMPUTE_PGM_RSRC2:TRAP_HANDLER: 0
; COMPUTE_PGM_RSRC2:TGID_X_EN: 1
; COMPUTE_PGM_RSRC2:TGID_Y_EN: 0
; COMPUTE_PGM_RSRC2:TGID_Z_EN: 0
; COMPUTE_PGM_RSRC2:TIDIG_COMP_CNT: 0
; COMPUTE_PGM_RSRC3_GFX90A:ACCUM_OFFSET: 0
; COMPUTE_PGM_RSRC3_GFX90A:TG_SPLIT: 0
	.section	.text._ZN2ck51kernel_gemm_multiple_d_xdl_cshuffle_lds_direct_loadINS_48GridwiseGemmMultipleD_Xdl_CShuffle_LdsDirectLoadINS_13tensor_layout4gemm8RowMajorENS3_11ColumnMajorENS_5TupleIJEEES4_ffDB19_ffS7_fNS_16tensor_operation12element_wise11PassThroughESB_SB_LNS_25InMemoryDataOperationEnumE0ELNS9_6device18GemmSpecializationE0ELi1ELi256ELi128ELi128ELi32ELi8ELi8ELi16ELi16ELi4ELi2ENS_8SequenceIJLi4ELi8ELi8EEEENSF_IJLi1ELi0ELi2EEEELi2ELi1ELi1ESG_SH_Li2ELi1ELi1ELi2ELi2ENSF_IJLi1ELi8ELi1ELi8EEEELi4ELNS_13LoopSchedulerE0ELNS_15PipelineVersionE2ES8_EEffS7_fSB_SB_SB_NS_16TensorDescriptorINS6_IJNS_5EmbedINS6_IJiiEEENS6_IJiNS_17integral_constantIiLi1EEEEEELb0EEENS_11PassThroughIiEESU_NS_7UnMergeINS6_IJiNSP_IiLi8EEEEEELb0EEESU_EEENS6_IJNSF_IJLi0EEEENSF_IJLi1EEEENSF_IJLi2EEEENSF_IJLi4EEEENSF_IJLi3EEEEEEENS6_IJNSF_IJLi1ELi2EEEES14_S13_NSF_IJLi5ELi6EEEENSF_IJLi7EEEEEEENSF_IJLi5ELi7ELi6EEEElEES1B_S7_NSM_INS6_IJSS_SU_SU_NSV_INS6_IJiNSP_IiLi128EEEEEELb0EEES1E_EEENS6_IJS10_S11_S12_S14_S13_EEENS6_IJS16_S14_S13_S17_NSF_IJLi7ELi8EEEEEEENSF_IJLi5ELi6ELi7ELi8EEEElEENS_31BlockToCTileMap_M00_N0_M01AdaptILi128ELi128ENSM_INS6_IJSS_SU_SU_EEENS6_IJS10_S11_S12_EEENS6_IJS16_S14_S13_EEENSF_IJLi3ELi4EEEElEEiEELb0ELi2EEEvPKT0_PKT1_T2_PT3_T4_T5_T6_T7_T8_T9_T10_T11_,"axG",@progbits,_ZN2ck51kernel_gemm_multiple_d_xdl_cshuffle_lds_direct_loadINS_48GridwiseGemmMultipleD_Xdl_CShuffle_LdsDirectLoadINS_13tensor_layout4gemm8RowMajorENS3_11ColumnMajorENS_5TupleIJEEES4_ffDB19_ffS7_fNS_16tensor_operation12element_wise11PassThroughESB_SB_LNS_25InMemoryDataOperationEnumE0ELNS9_6device18GemmSpecializationE0ELi1ELi256ELi128ELi128ELi32ELi8ELi8ELi16ELi16ELi4ELi2ENS_8SequenceIJLi4ELi8ELi8EEEENSF_IJLi1ELi0ELi2EEEELi2ELi1ELi1ESG_SH_Li2ELi1ELi1ELi2ELi2ENSF_IJLi1ELi8ELi1ELi8EEEELi4ELNS_13LoopSchedulerE0ELNS_15PipelineVersionE2ES8_EEffS7_fSB_SB_SB_NS_16TensorDescriptorINS6_IJNS_5EmbedINS6_IJiiEEENS6_IJiNS_17integral_constantIiLi1EEEEEELb0EEENS_11PassThroughIiEESU_NS_7UnMergeINS6_IJiNSP_IiLi8EEEEEELb0EEESU_EEENS6_IJNSF_IJLi0EEEENSF_IJLi1EEEENSF_IJLi2EEEENSF_IJLi4EEEENSF_IJLi3EEEEEEENS6_IJNSF_IJLi1ELi2EEEES14_S13_NSF_IJLi5ELi6EEEENSF_IJLi7EEEEEEENSF_IJLi5ELi7ELi6EEEElEES1B_S7_NSM_INS6_IJSS_SU_SU_NSV_INS6_IJiNSP_IiLi128EEEEEELb0EEES1E_EEENS6_IJS10_S11_S12_S14_S13_EEENS6_IJS16_S14_S13_S17_NSF_IJLi7ELi8EEEEEEENSF_IJLi5ELi6ELi7ELi8EEEElEENS_31BlockToCTileMap_M00_N0_M01AdaptILi128ELi128ENSM_INS6_IJSS_SU_SU_EEENS6_IJS10_S11_S12_EEENS6_IJS16_S14_S13_EEENSF_IJLi3ELi4EEEElEEiEELb0ELi2EEEvPKT0_PKT1_T2_PT3_T4_T5_T6_T7_T8_T9_T10_T11_,comdat
	.protected	_ZN2ck51kernel_gemm_multiple_d_xdl_cshuffle_lds_direct_loadINS_48GridwiseGemmMultipleD_Xdl_CShuffle_LdsDirectLoadINS_13tensor_layout4gemm8RowMajorENS3_11ColumnMajorENS_5TupleIJEEES4_ffDB19_ffS7_fNS_16tensor_operation12element_wise11PassThroughESB_SB_LNS_25InMemoryDataOperationEnumE0ELNS9_6device18GemmSpecializationE0ELi1ELi256ELi128ELi128ELi32ELi8ELi8ELi16ELi16ELi4ELi2ENS_8SequenceIJLi4ELi8ELi8EEEENSF_IJLi1ELi0ELi2EEEELi2ELi1ELi1ESG_SH_Li2ELi1ELi1ELi2ELi2ENSF_IJLi1ELi8ELi1ELi8EEEELi4ELNS_13LoopSchedulerE0ELNS_15PipelineVersionE2ES8_EEffS7_fSB_SB_SB_NS_16TensorDescriptorINS6_IJNS_5EmbedINS6_IJiiEEENS6_IJiNS_17integral_constantIiLi1EEEEEELb0EEENS_11PassThroughIiEESU_NS_7UnMergeINS6_IJiNSP_IiLi8EEEEEELb0EEESU_EEENS6_IJNSF_IJLi0EEEENSF_IJLi1EEEENSF_IJLi2EEEENSF_IJLi4EEEENSF_IJLi3EEEEEEENS6_IJNSF_IJLi1ELi2EEEES14_S13_NSF_IJLi5ELi6EEEENSF_IJLi7EEEEEEENSF_IJLi5ELi7ELi6EEEElEES1B_S7_NSM_INS6_IJSS_SU_SU_NSV_INS6_IJiNSP_IiLi128EEEEEELb0EEES1E_EEENS6_IJS10_S11_S12_S14_S13_EEENS6_IJS16_S14_S13_S17_NSF_IJLi7ELi8EEEEEEENSF_IJLi5ELi6ELi7ELi8EEEElEENS_31BlockToCTileMap_M00_N0_M01AdaptILi128ELi128ENSM_INS6_IJSS_SU_SU_EEENS6_IJS10_S11_S12_EEENS6_IJS16_S14_S13_EEENSF_IJLi3ELi4EEEElEEiEELb0ELi2EEEvPKT0_PKT1_T2_PT3_T4_T5_T6_T7_T8_T9_T10_T11_ ; -- Begin function _ZN2ck51kernel_gemm_multiple_d_xdl_cshuffle_lds_direct_loadINS_48GridwiseGemmMultipleD_Xdl_CShuffle_LdsDirectLoadINS_13tensor_layout4gemm8RowMajorENS3_11ColumnMajorENS_5TupleIJEEES4_ffDB19_ffS7_fNS_16tensor_operation12element_wise11PassThroughESB_SB_LNS_25InMemoryDataOperationEnumE0ELNS9_6device18GemmSpecializationE0ELi1ELi256ELi128ELi128ELi32ELi8ELi8ELi16ELi16ELi4ELi2ENS_8SequenceIJLi4ELi8ELi8EEEENSF_IJLi1ELi0ELi2EEEELi2ELi1ELi1ESG_SH_Li2ELi1ELi1ELi2ELi2ENSF_IJLi1ELi8ELi1ELi8EEEELi4ELNS_13LoopSchedulerE0ELNS_15PipelineVersionE2ES8_EEffS7_fSB_SB_SB_NS_16TensorDescriptorINS6_IJNS_5EmbedINS6_IJiiEEENS6_IJiNS_17integral_constantIiLi1EEEEEELb0EEENS_11PassThroughIiEESU_NS_7UnMergeINS6_IJiNSP_IiLi8EEEEEELb0EEESU_EEENS6_IJNSF_IJLi0EEEENSF_IJLi1EEEENSF_IJLi2EEEENSF_IJLi4EEEENSF_IJLi3EEEEEEENS6_IJNSF_IJLi1ELi2EEEES14_S13_NSF_IJLi5ELi6EEEENSF_IJLi7EEEEEEENSF_IJLi5ELi7ELi6EEEElEES1B_S7_NSM_INS6_IJSS_SU_SU_NSV_INS6_IJiNSP_IiLi128EEEEEELb0EEES1E_EEENS6_IJS10_S11_S12_S14_S13_EEENS6_IJS16_S14_S13_S17_NSF_IJLi7ELi8EEEEEEENSF_IJLi5ELi6ELi7ELi8EEEElEENS_31BlockToCTileMap_M00_N0_M01AdaptILi128ELi128ENSM_INS6_IJSS_SU_SU_EEENS6_IJS10_S11_S12_EEENS6_IJS16_S14_S13_EEENSF_IJLi3ELi4EEEElEEiEELb0ELi2EEEvPKT0_PKT1_T2_PT3_T4_T5_T6_T7_T8_T9_T10_T11_
	.globl	_ZN2ck51kernel_gemm_multiple_d_xdl_cshuffle_lds_direct_loadINS_48GridwiseGemmMultipleD_Xdl_CShuffle_LdsDirectLoadINS_13tensor_layout4gemm8RowMajorENS3_11ColumnMajorENS_5TupleIJEEES4_ffDB19_ffS7_fNS_16tensor_operation12element_wise11PassThroughESB_SB_LNS_25InMemoryDataOperationEnumE0ELNS9_6device18GemmSpecializationE0ELi1ELi256ELi128ELi128ELi32ELi8ELi8ELi16ELi16ELi4ELi2ENS_8SequenceIJLi4ELi8ELi8EEEENSF_IJLi1ELi0ELi2EEEELi2ELi1ELi1ESG_SH_Li2ELi1ELi1ELi2ELi2ENSF_IJLi1ELi8ELi1ELi8EEEELi4ELNS_13LoopSchedulerE0ELNS_15PipelineVersionE2ES8_EEffS7_fSB_SB_SB_NS_16TensorDescriptorINS6_IJNS_5EmbedINS6_IJiiEEENS6_IJiNS_17integral_constantIiLi1EEEEEELb0EEENS_11PassThroughIiEESU_NS_7UnMergeINS6_IJiNSP_IiLi8EEEEEELb0EEESU_EEENS6_IJNSF_IJLi0EEEENSF_IJLi1EEEENSF_IJLi2EEEENSF_IJLi4EEEENSF_IJLi3EEEEEEENS6_IJNSF_IJLi1ELi2EEEES14_S13_NSF_IJLi5ELi6EEEENSF_IJLi7EEEEEEENSF_IJLi5ELi7ELi6EEEElEES1B_S7_NSM_INS6_IJSS_SU_SU_NSV_INS6_IJiNSP_IiLi128EEEEEELb0EEES1E_EEENS6_IJS10_S11_S12_S14_S13_EEENS6_IJS16_S14_S13_S17_NSF_IJLi7ELi8EEEEEEENSF_IJLi5ELi6ELi7ELi8EEEElEENS_31BlockToCTileMap_M00_N0_M01AdaptILi128ELi128ENSM_INS6_IJSS_SU_SU_EEENS6_IJS10_S11_S12_EEENS6_IJS16_S14_S13_EEENSF_IJLi3ELi4EEEElEEiEELb0ELi2EEEvPKT0_PKT1_T2_PT3_T4_T5_T6_T7_T8_T9_T10_T11_
	.p2align	8
	.type	_ZN2ck51kernel_gemm_multiple_d_xdl_cshuffle_lds_direct_loadINS_48GridwiseGemmMultipleD_Xdl_CShuffle_LdsDirectLoadINS_13tensor_layout4gemm8RowMajorENS3_11ColumnMajorENS_5TupleIJEEES4_ffDB19_ffS7_fNS_16tensor_operation12element_wise11PassThroughESB_SB_LNS_25InMemoryDataOperationEnumE0ELNS9_6device18GemmSpecializationE0ELi1ELi256ELi128ELi128ELi32ELi8ELi8ELi16ELi16ELi4ELi2ENS_8SequenceIJLi4ELi8ELi8EEEENSF_IJLi1ELi0ELi2EEEELi2ELi1ELi1ESG_SH_Li2ELi1ELi1ELi2ELi2ENSF_IJLi1ELi8ELi1ELi8EEEELi4ELNS_13LoopSchedulerE0ELNS_15PipelineVersionE2ES8_EEffS7_fSB_SB_SB_NS_16TensorDescriptorINS6_IJNS_5EmbedINS6_IJiiEEENS6_IJiNS_17integral_constantIiLi1EEEEEELb0EEENS_11PassThroughIiEESU_NS_7UnMergeINS6_IJiNSP_IiLi8EEEEEELb0EEESU_EEENS6_IJNSF_IJLi0EEEENSF_IJLi1EEEENSF_IJLi2EEEENSF_IJLi4EEEENSF_IJLi3EEEEEEENS6_IJNSF_IJLi1ELi2EEEES14_S13_NSF_IJLi5ELi6EEEENSF_IJLi7EEEEEEENSF_IJLi5ELi7ELi6EEEElEES1B_S7_NSM_INS6_IJSS_SU_SU_NSV_INS6_IJiNSP_IiLi128EEEEEELb0EEES1E_EEENS6_IJS10_S11_S12_S14_S13_EEENS6_IJS16_S14_S13_S17_NSF_IJLi7ELi8EEEEEEENSF_IJLi5ELi6ELi7ELi8EEEElEENS_31BlockToCTileMap_M00_N0_M01AdaptILi128ELi128ENSM_INS6_IJSS_SU_SU_EEENS6_IJS10_S11_S12_EEENS6_IJS16_S14_S13_EEENSF_IJLi3ELi4EEEElEEiEELb0ELi2EEEvPKT0_PKT1_T2_PT3_T4_T5_T6_T7_T8_T9_T10_T11_,@function
_ZN2ck51kernel_gemm_multiple_d_xdl_cshuffle_lds_direct_loadINS_48GridwiseGemmMultipleD_Xdl_CShuffle_LdsDirectLoadINS_13tensor_layout4gemm8RowMajorENS3_11ColumnMajorENS_5TupleIJEEES4_ffDB19_ffS7_fNS_16tensor_operation12element_wise11PassThroughESB_SB_LNS_25InMemoryDataOperationEnumE0ELNS9_6device18GemmSpecializationE0ELi1ELi256ELi128ELi128ELi32ELi8ELi8ELi16ELi16ELi4ELi2ENS_8SequenceIJLi4ELi8ELi8EEEENSF_IJLi1ELi0ELi2EEEELi2ELi1ELi1ESG_SH_Li2ELi1ELi1ELi2ELi2ENSF_IJLi1ELi8ELi1ELi8EEEELi4ELNS_13LoopSchedulerE0ELNS_15PipelineVersionE2ES8_EEffS7_fSB_SB_SB_NS_16TensorDescriptorINS6_IJNS_5EmbedINS6_IJiiEEENS6_IJiNS_17integral_constantIiLi1EEEEEELb0EEENS_11PassThroughIiEESU_NS_7UnMergeINS6_IJiNSP_IiLi8EEEEEELb0EEESU_EEENS6_IJNSF_IJLi0EEEENSF_IJLi1EEEENSF_IJLi2EEEENSF_IJLi4EEEENSF_IJLi3EEEEEEENS6_IJNSF_IJLi1ELi2EEEES14_S13_NSF_IJLi5ELi6EEEENSF_IJLi7EEEEEEENSF_IJLi5ELi7ELi6EEEElEES1B_S7_NSM_INS6_IJSS_SU_SU_NSV_INS6_IJiNSP_IiLi128EEEEEELb0EEES1E_EEENS6_IJS10_S11_S12_S14_S13_EEENS6_IJS16_S14_S13_S17_NSF_IJLi7ELi8EEEEEEENSF_IJLi5ELi6ELi7ELi8EEEElEENS_31BlockToCTileMap_M00_N0_M01AdaptILi128ELi128ENSM_INS6_IJSS_SU_SU_EEENS6_IJS10_S11_S12_EEENS6_IJS16_S14_S13_EEENSF_IJLi3ELi4EEEElEEiEELb0ELi2EEEvPKT0_PKT1_T2_PT3_T4_T5_T6_T7_T8_T9_T10_T11_: ; @_ZN2ck51kernel_gemm_multiple_d_xdl_cshuffle_lds_direct_loadINS_48GridwiseGemmMultipleD_Xdl_CShuffle_LdsDirectLoadINS_13tensor_layout4gemm8RowMajorENS3_11ColumnMajorENS_5TupleIJEEES4_ffDB19_ffS7_fNS_16tensor_operation12element_wise11PassThroughESB_SB_LNS_25InMemoryDataOperationEnumE0ELNS9_6device18GemmSpecializationE0ELi1ELi256ELi128ELi128ELi32ELi8ELi8ELi16ELi16ELi4ELi2ENS_8SequenceIJLi4ELi8ELi8EEEENSF_IJLi1ELi0ELi2EEEELi2ELi1ELi1ESG_SH_Li2ELi1ELi1ELi2ELi2ENSF_IJLi1ELi8ELi1ELi8EEEELi4ELNS_13LoopSchedulerE0ELNS_15PipelineVersionE2ES8_EEffS7_fSB_SB_SB_NS_16TensorDescriptorINS6_IJNS_5EmbedINS6_IJiiEEENS6_IJiNS_17integral_constantIiLi1EEEEEELb0EEENS_11PassThroughIiEESU_NS_7UnMergeINS6_IJiNSP_IiLi8EEEEEELb0EEESU_EEENS6_IJNSF_IJLi0EEEENSF_IJLi1EEEENSF_IJLi2EEEENSF_IJLi4EEEENSF_IJLi3EEEEEEENS6_IJNSF_IJLi1ELi2EEEES14_S13_NSF_IJLi5ELi6EEEENSF_IJLi7EEEEEEENSF_IJLi5ELi7ELi6EEEElEES1B_S7_NSM_INS6_IJSS_SU_SU_NSV_INS6_IJiNSP_IiLi128EEEEEELb0EEES1E_EEENS6_IJS10_S11_S12_S14_S13_EEENS6_IJS16_S14_S13_S17_NSF_IJLi7ELi8EEEEEEENSF_IJLi5ELi6ELi7ELi8EEEElEENS_31BlockToCTileMap_M00_N0_M01AdaptILi128ELi128ENSM_INS6_IJSS_SU_SU_EEENS6_IJS10_S11_S12_EEENS6_IJS16_S14_S13_EEENSF_IJLi3ELi4EEEElEEiEELb0ELi2EEEvPKT0_PKT1_T2_PT3_T4_T5_T6_T7_T8_T9_T10_T11_
; %bb.0:
	s_endpgm
	.section	.rodata,"a",@progbits
	.p2align	6, 0x0
	.amdhsa_kernel _ZN2ck51kernel_gemm_multiple_d_xdl_cshuffle_lds_direct_loadINS_48GridwiseGemmMultipleD_Xdl_CShuffle_LdsDirectLoadINS_13tensor_layout4gemm8RowMajorENS3_11ColumnMajorENS_5TupleIJEEES4_ffDB19_ffS7_fNS_16tensor_operation12element_wise11PassThroughESB_SB_LNS_25InMemoryDataOperationEnumE0ELNS9_6device18GemmSpecializationE0ELi1ELi256ELi128ELi128ELi32ELi8ELi8ELi16ELi16ELi4ELi2ENS_8SequenceIJLi4ELi8ELi8EEEENSF_IJLi1ELi0ELi2EEEELi2ELi1ELi1ESG_SH_Li2ELi1ELi1ELi2ELi2ENSF_IJLi1ELi8ELi1ELi8EEEELi4ELNS_13LoopSchedulerE0ELNS_15PipelineVersionE2ES8_EEffS7_fSB_SB_SB_NS_16TensorDescriptorINS6_IJNS_5EmbedINS6_IJiiEEENS6_IJiNS_17integral_constantIiLi1EEEEEELb0EEENS_11PassThroughIiEESU_NS_7UnMergeINS6_IJiNSP_IiLi8EEEEEELb0EEESU_EEENS6_IJNSF_IJLi0EEEENSF_IJLi1EEEENSF_IJLi2EEEENSF_IJLi4EEEENSF_IJLi3EEEEEEENS6_IJNSF_IJLi1ELi2EEEES14_S13_NSF_IJLi5ELi6EEEENSF_IJLi7EEEEEEENSF_IJLi5ELi7ELi6EEEElEES1B_S7_NSM_INS6_IJSS_SU_SU_NSV_INS6_IJiNSP_IiLi128EEEEEELb0EEES1E_EEENS6_IJS10_S11_S12_S14_S13_EEENS6_IJS16_S14_S13_S17_NSF_IJLi7ELi8EEEEEEENSF_IJLi5ELi6ELi7ELi8EEEElEENS_31BlockToCTileMap_M00_N0_M01AdaptILi128ELi128ENSM_INS6_IJSS_SU_SU_EEENS6_IJS10_S11_S12_EEENS6_IJS16_S14_S13_EEENSF_IJLi3ELi4EEEElEEiEELb0ELi2EEEvPKT0_PKT1_T2_PT3_T4_T5_T6_T7_T8_T9_T10_T11_
		.amdhsa_group_segment_fixed_size 0
		.amdhsa_private_segment_fixed_size 0
		.amdhsa_kernarg_size 236
		.amdhsa_user_sgpr_count 6
		.amdhsa_user_sgpr_private_segment_buffer 1
		.amdhsa_user_sgpr_dispatch_ptr 0
		.amdhsa_user_sgpr_queue_ptr 0
		.amdhsa_user_sgpr_kernarg_segment_ptr 1
		.amdhsa_user_sgpr_dispatch_id 0
		.amdhsa_user_sgpr_flat_scratch_init 0
		.amdhsa_user_sgpr_kernarg_preload_length 0
		.amdhsa_user_sgpr_kernarg_preload_offset 0
		.amdhsa_user_sgpr_private_segment_size 0
		.amdhsa_uses_dynamic_stack 0
		.amdhsa_system_sgpr_private_segment_wavefront_offset 0
		.amdhsa_system_sgpr_workgroup_id_x 1
		.amdhsa_system_sgpr_workgroup_id_y 0
		.amdhsa_system_sgpr_workgroup_id_z 0
		.amdhsa_system_sgpr_workgroup_info 0
		.amdhsa_system_vgpr_workitem_id 0
		.amdhsa_next_free_vgpr 1
		.amdhsa_next_free_sgpr 0
		.amdhsa_accum_offset 4
		.amdhsa_reserve_vcc 0
		.amdhsa_reserve_flat_scratch 0
		.amdhsa_float_round_mode_32 0
		.amdhsa_float_round_mode_16_64 0
		.amdhsa_float_denorm_mode_32 3
		.amdhsa_float_denorm_mode_16_64 3
		.amdhsa_dx10_clamp 1
		.amdhsa_ieee_mode 1
		.amdhsa_fp16_overflow 0
		.amdhsa_tg_split 0
		.amdhsa_exception_fp_ieee_invalid_op 0
		.amdhsa_exception_fp_denorm_src 0
		.amdhsa_exception_fp_ieee_div_zero 0
		.amdhsa_exception_fp_ieee_overflow 0
		.amdhsa_exception_fp_ieee_underflow 0
		.amdhsa_exception_fp_ieee_inexact 0
		.amdhsa_exception_int_div_zero 0
	.end_amdhsa_kernel
	.section	.text._ZN2ck51kernel_gemm_multiple_d_xdl_cshuffle_lds_direct_loadINS_48GridwiseGemmMultipleD_Xdl_CShuffle_LdsDirectLoadINS_13tensor_layout4gemm8RowMajorENS3_11ColumnMajorENS_5TupleIJEEES4_ffDB19_ffS7_fNS_16tensor_operation12element_wise11PassThroughESB_SB_LNS_25InMemoryDataOperationEnumE0ELNS9_6device18GemmSpecializationE0ELi1ELi256ELi128ELi128ELi32ELi8ELi8ELi16ELi16ELi4ELi2ENS_8SequenceIJLi4ELi8ELi8EEEENSF_IJLi1ELi0ELi2EEEELi2ELi1ELi1ESG_SH_Li2ELi1ELi1ELi2ELi2ENSF_IJLi1ELi8ELi1ELi8EEEELi4ELNS_13LoopSchedulerE0ELNS_15PipelineVersionE2ES8_EEffS7_fSB_SB_SB_NS_16TensorDescriptorINS6_IJNS_5EmbedINS6_IJiiEEENS6_IJiNS_17integral_constantIiLi1EEEEEELb0EEENS_11PassThroughIiEESU_NS_7UnMergeINS6_IJiNSP_IiLi8EEEEEELb0EEESU_EEENS6_IJNSF_IJLi0EEEENSF_IJLi1EEEENSF_IJLi2EEEENSF_IJLi4EEEENSF_IJLi3EEEEEEENS6_IJNSF_IJLi1ELi2EEEES14_S13_NSF_IJLi5ELi6EEEENSF_IJLi7EEEEEEENSF_IJLi5ELi7ELi6EEEElEES1B_S7_NSM_INS6_IJSS_SU_SU_NSV_INS6_IJiNSP_IiLi128EEEEEELb0EEES1E_EEENS6_IJS10_S11_S12_S14_S13_EEENS6_IJS16_S14_S13_S17_NSF_IJLi7ELi8EEEEEEENSF_IJLi5ELi6ELi7ELi8EEEElEENS_31BlockToCTileMap_M00_N0_M01AdaptILi128ELi128ENSM_INS6_IJSS_SU_SU_EEENS6_IJS10_S11_S12_EEENS6_IJS16_S14_S13_EEENSF_IJLi3ELi4EEEElEEiEELb0ELi2EEEvPKT0_PKT1_T2_PT3_T4_T5_T6_T7_T8_T9_T10_T11_,"axG",@progbits,_ZN2ck51kernel_gemm_multiple_d_xdl_cshuffle_lds_direct_loadINS_48GridwiseGemmMultipleD_Xdl_CShuffle_LdsDirectLoadINS_13tensor_layout4gemm8RowMajorENS3_11ColumnMajorENS_5TupleIJEEES4_ffDB19_ffS7_fNS_16tensor_operation12element_wise11PassThroughESB_SB_LNS_25InMemoryDataOperationEnumE0ELNS9_6device18GemmSpecializationE0ELi1ELi256ELi128ELi128ELi32ELi8ELi8ELi16ELi16ELi4ELi2ENS_8SequenceIJLi4ELi8ELi8EEEENSF_IJLi1ELi0ELi2EEEELi2ELi1ELi1ESG_SH_Li2ELi1ELi1ELi2ELi2ENSF_IJLi1ELi8ELi1ELi8EEEELi4ELNS_13LoopSchedulerE0ELNS_15PipelineVersionE2ES8_EEffS7_fSB_SB_SB_NS_16TensorDescriptorINS6_IJNS_5EmbedINS6_IJiiEEENS6_IJiNS_17integral_constantIiLi1EEEEEELb0EEENS_11PassThroughIiEESU_NS_7UnMergeINS6_IJiNSP_IiLi8EEEEEELb0EEESU_EEENS6_IJNSF_IJLi0EEEENSF_IJLi1EEEENSF_IJLi2EEEENSF_IJLi4EEEENSF_IJLi3EEEEEEENS6_IJNSF_IJLi1ELi2EEEES14_S13_NSF_IJLi5ELi6EEEENSF_IJLi7EEEEEEENSF_IJLi5ELi7ELi6EEEElEES1B_S7_NSM_INS6_IJSS_SU_SU_NSV_INS6_IJiNSP_IiLi128EEEEEELb0EEES1E_EEENS6_IJS10_S11_S12_S14_S13_EEENS6_IJS16_S14_S13_S17_NSF_IJLi7ELi8EEEEEEENSF_IJLi5ELi6ELi7ELi8EEEElEENS_31BlockToCTileMap_M00_N0_M01AdaptILi128ELi128ENSM_INS6_IJSS_SU_SU_EEENS6_IJS10_S11_S12_EEENS6_IJS16_S14_S13_EEENSF_IJLi3ELi4EEEElEEiEELb0ELi2EEEvPKT0_PKT1_T2_PT3_T4_T5_T6_T7_T8_T9_T10_T11_,comdat
.Lfunc_end4:
	.size	_ZN2ck51kernel_gemm_multiple_d_xdl_cshuffle_lds_direct_loadINS_48GridwiseGemmMultipleD_Xdl_CShuffle_LdsDirectLoadINS_13tensor_layout4gemm8RowMajorENS3_11ColumnMajorENS_5TupleIJEEES4_ffDB19_ffS7_fNS_16tensor_operation12element_wise11PassThroughESB_SB_LNS_25InMemoryDataOperationEnumE0ELNS9_6device18GemmSpecializationE0ELi1ELi256ELi128ELi128ELi32ELi8ELi8ELi16ELi16ELi4ELi2ENS_8SequenceIJLi4ELi8ELi8EEEENSF_IJLi1ELi0ELi2EEEELi2ELi1ELi1ESG_SH_Li2ELi1ELi1ELi2ELi2ENSF_IJLi1ELi8ELi1ELi8EEEELi4ELNS_13LoopSchedulerE0ELNS_15PipelineVersionE2ES8_EEffS7_fSB_SB_SB_NS_16TensorDescriptorINS6_IJNS_5EmbedINS6_IJiiEEENS6_IJiNS_17integral_constantIiLi1EEEEEELb0EEENS_11PassThroughIiEESU_NS_7UnMergeINS6_IJiNSP_IiLi8EEEEEELb0EEESU_EEENS6_IJNSF_IJLi0EEEENSF_IJLi1EEEENSF_IJLi2EEEENSF_IJLi4EEEENSF_IJLi3EEEEEEENS6_IJNSF_IJLi1ELi2EEEES14_S13_NSF_IJLi5ELi6EEEENSF_IJLi7EEEEEEENSF_IJLi5ELi7ELi6EEEElEES1B_S7_NSM_INS6_IJSS_SU_SU_NSV_INS6_IJiNSP_IiLi128EEEEEELb0EEES1E_EEENS6_IJS10_S11_S12_S14_S13_EEENS6_IJS16_S14_S13_S17_NSF_IJLi7ELi8EEEEEEENSF_IJLi5ELi6ELi7ELi8EEEElEENS_31BlockToCTileMap_M00_N0_M01AdaptILi128ELi128ENSM_INS6_IJSS_SU_SU_EEENS6_IJS10_S11_S12_EEENS6_IJS16_S14_S13_EEENSF_IJLi3ELi4EEEElEEiEELb0ELi2EEEvPKT0_PKT1_T2_PT3_T4_T5_T6_T7_T8_T9_T10_T11_, .Lfunc_end4-_ZN2ck51kernel_gemm_multiple_d_xdl_cshuffle_lds_direct_loadINS_48GridwiseGemmMultipleD_Xdl_CShuffle_LdsDirectLoadINS_13tensor_layout4gemm8RowMajorENS3_11ColumnMajorENS_5TupleIJEEES4_ffDB19_ffS7_fNS_16tensor_operation12element_wise11PassThroughESB_SB_LNS_25InMemoryDataOperationEnumE0ELNS9_6device18GemmSpecializationE0ELi1ELi256ELi128ELi128ELi32ELi8ELi8ELi16ELi16ELi4ELi2ENS_8SequenceIJLi4ELi8ELi8EEEENSF_IJLi1ELi0ELi2EEEELi2ELi1ELi1ESG_SH_Li2ELi1ELi1ELi2ELi2ENSF_IJLi1ELi8ELi1ELi8EEEELi4ELNS_13LoopSchedulerE0ELNS_15PipelineVersionE2ES8_EEffS7_fSB_SB_SB_NS_16TensorDescriptorINS6_IJNS_5EmbedINS6_IJiiEEENS6_IJiNS_17integral_constantIiLi1EEEEEELb0EEENS_11PassThroughIiEESU_NS_7UnMergeINS6_IJiNSP_IiLi8EEEEEELb0EEESU_EEENS6_IJNSF_IJLi0EEEENSF_IJLi1EEEENSF_IJLi2EEEENSF_IJLi4EEEENSF_IJLi3EEEEEEENS6_IJNSF_IJLi1ELi2EEEES14_S13_NSF_IJLi5ELi6EEEENSF_IJLi7EEEEEEENSF_IJLi5ELi7ELi6EEEElEES1B_S7_NSM_INS6_IJSS_SU_SU_NSV_INS6_IJiNSP_IiLi128EEEEEELb0EEES1E_EEENS6_IJS10_S11_S12_S14_S13_EEENS6_IJS16_S14_S13_S17_NSF_IJLi7ELi8EEEEEEENSF_IJLi5ELi6ELi7ELi8EEEElEENS_31BlockToCTileMap_M00_N0_M01AdaptILi128ELi128ENSM_INS6_IJSS_SU_SU_EEENS6_IJS10_S11_S12_EEENS6_IJS16_S14_S13_EEENSF_IJLi3ELi4EEEElEEiEELb0ELi2EEEvPKT0_PKT1_T2_PT3_T4_T5_T6_T7_T8_T9_T10_T11_
                                        ; -- End function
	.section	.AMDGPU.csdata,"",@progbits
; Kernel info:
; codeLenInByte = 4
; NumSgprs: 4
; NumVgprs: 0
; NumAgprs: 0
; TotalNumVgprs: 0
; ScratchSize: 0
; MemoryBound: 0
; FloatMode: 240
; IeeeMode: 1
; LDSByteSize: 0 bytes/workgroup (compile time only)
; SGPRBlocks: 0
; VGPRBlocks: 0
; NumSGPRsForWavesPerEU: 4
; NumVGPRsForWavesPerEU: 1
; AccumOffset: 4
; Occupancy: 8
; WaveLimiterHint : 0
; COMPUTE_PGM_RSRC2:SCRATCH_EN: 0
; COMPUTE_PGM_RSRC2:USER_SGPR: 6
; COMPUTE_PGM_RSRC2:TRAP_HANDLER: 0
; COMPUTE_PGM_RSRC2:TGID_X_EN: 1
; COMPUTE_PGM_RSRC2:TGID_Y_EN: 0
; COMPUTE_PGM_RSRC2:TGID_Z_EN: 0
; COMPUTE_PGM_RSRC2:TIDIG_COMP_CNT: 0
; COMPUTE_PGM_RSRC3_GFX90A:ACCUM_OFFSET: 0
; COMPUTE_PGM_RSRC3_GFX90A:TG_SPLIT: 0
	.section	.text._ZN2ck17naive_gemm_kernelINS_13tensor_layout4gemm8RowMajorENS2_11ColumnMajorES3_ffffNS_16tensor_operation12element_wise11PassThroughES7_S7_ffEEvPKT2_PKT3_PT4_iiiT6_T7_T8_,"axG",@progbits,_ZN2ck17naive_gemm_kernelINS_13tensor_layout4gemm8RowMajorENS2_11ColumnMajorES3_ffffNS_16tensor_operation12element_wise11PassThroughES7_S7_ffEEvPKT2_PKT3_PT4_iiiT6_T7_T8_,comdat
	.protected	_ZN2ck17naive_gemm_kernelINS_13tensor_layout4gemm8RowMajorENS2_11ColumnMajorES3_ffffNS_16tensor_operation12element_wise11PassThroughES7_S7_ffEEvPKT2_PKT3_PT4_iiiT6_T7_T8_ ; -- Begin function _ZN2ck17naive_gemm_kernelINS_13tensor_layout4gemm8RowMajorENS2_11ColumnMajorES3_ffffNS_16tensor_operation12element_wise11PassThroughES7_S7_ffEEvPKT2_PKT3_PT4_iiiT6_T7_T8_
	.globl	_ZN2ck17naive_gemm_kernelINS_13tensor_layout4gemm8RowMajorENS2_11ColumnMajorES3_ffffNS_16tensor_operation12element_wise11PassThroughES7_S7_ffEEvPKT2_PKT3_PT4_iiiT6_T7_T8_
	.p2align	8
	.type	_ZN2ck17naive_gemm_kernelINS_13tensor_layout4gemm8RowMajorENS2_11ColumnMajorES3_ffffNS_16tensor_operation12element_wise11PassThroughES7_S7_ffEEvPKT2_PKT3_PT4_iiiT6_T7_T8_,@function
_ZN2ck17naive_gemm_kernelINS_13tensor_layout4gemm8RowMajorENS2_11ColumnMajorES3_ffffNS_16tensor_operation12element_wise11PassThroughES7_S7_ffEEvPKT2_PKT3_PT4_iiiT6_T7_T8_: ; @_ZN2ck17naive_gemm_kernelINS_13tensor_layout4gemm8RowMajorENS2_11ColumnMajorES3_ffffNS_16tensor_operation12element_wise11PassThroughES7_S7_ffEEvPKT2_PKT3_PT4_iiiT6_T7_T8_
; %bb.0:
	s_load_dword s0, s[4:5], 0x34
	s_load_dwordx4 s[8:11], s[4:5], 0x18
	v_and_b32_e32 v1, 0x3ff, v0
	v_bfe_u32 v0, v0, 10, 10
	s_waitcnt lgkmcnt(0)
	s_lshr_b32 s1, s0, 16
	s_and_b32 s0, s0, 0xffff
	s_mul_i32 s6, s6, s0
	s_mul_i32 s7, s7, s1
	v_add_u32_e32 v1, s6, v1
	v_add_u32_e32 v0, s7, v0
	v_cmp_gt_i32_e32 vcc, s8, v1
	v_cmp_gt_i32_e64 s[0:1], s9, v0
	s_and_b64 s[0:1], vcc, s[0:1]
	s_and_saveexec_b64 s[2:3], s[0:1]
	s_cbranch_execz .LBB5_6
; %bb.1:
	s_load_dwordx2 s[0:1], s[4:5], 0x10
	s_cmp_lt_i32 s10, 1
	s_cbranch_scc1 .LBB5_4
; %bb.2:
	s_load_dwordx4 s[4:7], s[4:5], 0x0
	v_mul_lo_u32 v2, v0, s10
	v_ashrrev_i32_e32 v3, 31, v2
	v_lshlrev_b64 v[2:3], 2, v[2:3]
	v_mul_lo_u32 v4, v1, s10
	s_waitcnt lgkmcnt(0)
	v_mov_b32_e32 v5, s7
	v_add_co_u32_e32 v2, vcc, s6, v2
	v_addc_co_u32_e32 v3, vcc, v5, v3, vcc
	v_ashrrev_i32_e32 v5, 31, v4
	v_lshlrev_b64 v[4:5], 2, v[4:5]
	v_mov_b32_e32 v6, s5
	v_add_co_u32_e32 v4, vcc, s4, v4
	v_addc_co_u32_e32 v5, vcc, v6, v5, vcc
	v_mov_b32_e32 v6, 0
.LBB5_3:                                ; =>This Inner Loop Header: Depth=1
	global_load_dword v7, v[4:5], off
	global_load_dword v8, v[2:3], off
	v_add_co_u32_e32 v2, vcc, 4, v2
	v_addc_co_u32_e32 v3, vcc, 0, v3, vcc
	s_add_i32 s10, s10, -1
	v_add_co_u32_e32 v4, vcc, 4, v4
	v_addc_co_u32_e32 v5, vcc, 0, v5, vcc
	s_cmp_eq_u32 s10, 0
	s_waitcnt vmcnt(0)
	v_fmac_f32_e32 v6, v7, v8
	s_cbranch_scc0 .LBB5_3
	s_branch .LBB5_5
.LBB5_4:
	v_mov_b32_e32 v6, 0
.LBB5_5:
	v_mad_u64_u32 v[0:1], s[2:3], v1, s9, v[0:1]
	v_ashrrev_i32_e32 v1, 31, v0
	v_lshlrev_b64 v[0:1], 2, v[0:1]
	s_waitcnt lgkmcnt(0)
	v_mov_b32_e32 v2, s1
	v_add_co_u32_e32 v0, vcc, s0, v0
	v_addc_co_u32_e32 v1, vcc, v2, v1, vcc
	global_store_dword v[0:1], v6, off
.LBB5_6:
	s_endpgm
	.section	.rodata,"a",@progbits
	.p2align	6, 0x0
	.amdhsa_kernel _ZN2ck17naive_gemm_kernelINS_13tensor_layout4gemm8RowMajorENS2_11ColumnMajorES3_ffffNS_16tensor_operation12element_wise11PassThroughES7_S7_ffEEvPKT2_PKT3_PT4_iiiT6_T7_T8_
		.amdhsa_group_segment_fixed_size 0
		.amdhsa_private_segment_fixed_size 0
		.amdhsa_kernarg_size 296
		.amdhsa_user_sgpr_count 6
		.amdhsa_user_sgpr_private_segment_buffer 1
		.amdhsa_user_sgpr_dispatch_ptr 0
		.amdhsa_user_sgpr_queue_ptr 0
		.amdhsa_user_sgpr_kernarg_segment_ptr 1
		.amdhsa_user_sgpr_dispatch_id 0
		.amdhsa_user_sgpr_flat_scratch_init 0
		.amdhsa_user_sgpr_kernarg_preload_length 0
		.amdhsa_user_sgpr_kernarg_preload_offset 0
		.amdhsa_user_sgpr_private_segment_size 0
		.amdhsa_uses_dynamic_stack 0
		.amdhsa_system_sgpr_private_segment_wavefront_offset 0
		.amdhsa_system_sgpr_workgroup_id_x 1
		.amdhsa_system_sgpr_workgroup_id_y 1
		.amdhsa_system_sgpr_workgroup_id_z 0
		.amdhsa_system_sgpr_workgroup_info 0
		.amdhsa_system_vgpr_workitem_id 1
		.amdhsa_next_free_vgpr 9
		.amdhsa_next_free_sgpr 12
		.amdhsa_accum_offset 12
		.amdhsa_reserve_vcc 1
		.amdhsa_reserve_flat_scratch 0
		.amdhsa_float_round_mode_32 0
		.amdhsa_float_round_mode_16_64 0
		.amdhsa_float_denorm_mode_32 3
		.amdhsa_float_denorm_mode_16_64 3
		.amdhsa_dx10_clamp 1
		.amdhsa_ieee_mode 1
		.amdhsa_fp16_overflow 0
		.amdhsa_tg_split 0
		.amdhsa_exception_fp_ieee_invalid_op 0
		.amdhsa_exception_fp_denorm_src 0
		.amdhsa_exception_fp_ieee_div_zero 0
		.amdhsa_exception_fp_ieee_overflow 0
		.amdhsa_exception_fp_ieee_underflow 0
		.amdhsa_exception_fp_ieee_inexact 0
		.amdhsa_exception_int_div_zero 0
	.end_amdhsa_kernel
	.section	.text._ZN2ck17naive_gemm_kernelINS_13tensor_layout4gemm8RowMajorENS2_11ColumnMajorES3_ffffNS_16tensor_operation12element_wise11PassThroughES7_S7_ffEEvPKT2_PKT3_PT4_iiiT6_T7_T8_,"axG",@progbits,_ZN2ck17naive_gemm_kernelINS_13tensor_layout4gemm8RowMajorENS2_11ColumnMajorES3_ffffNS_16tensor_operation12element_wise11PassThroughES7_S7_ffEEvPKT2_PKT3_PT4_iiiT6_T7_T8_,comdat
.Lfunc_end5:
	.size	_ZN2ck17naive_gemm_kernelINS_13tensor_layout4gemm8RowMajorENS2_11ColumnMajorES3_ffffNS_16tensor_operation12element_wise11PassThroughES7_S7_ffEEvPKT2_PKT3_PT4_iiiT6_T7_T8_, .Lfunc_end5-_ZN2ck17naive_gemm_kernelINS_13tensor_layout4gemm8RowMajorENS2_11ColumnMajorES3_ffffNS_16tensor_operation12element_wise11PassThroughES7_S7_ffEEvPKT2_PKT3_PT4_iiiT6_T7_T8_
                                        ; -- End function
	.section	.AMDGPU.csdata,"",@progbits
; Kernel info:
; codeLenInByte = 292
; NumSgprs: 16
; NumVgprs: 9
; NumAgprs: 0
; TotalNumVgprs: 9
; ScratchSize: 0
; MemoryBound: 0
; FloatMode: 240
; IeeeMode: 1
; LDSByteSize: 0 bytes/workgroup (compile time only)
; SGPRBlocks: 1
; VGPRBlocks: 1
; NumSGPRsForWavesPerEU: 16
; NumVGPRsForWavesPerEU: 9
; AccumOffset: 12
; Occupancy: 8
; WaveLimiterHint : 0
; COMPUTE_PGM_RSRC2:SCRATCH_EN: 0
; COMPUTE_PGM_RSRC2:USER_SGPR: 6
; COMPUTE_PGM_RSRC2:TRAP_HANDLER: 0
; COMPUTE_PGM_RSRC2:TGID_X_EN: 1
; COMPUTE_PGM_RSRC2:TGID_Y_EN: 1
; COMPUTE_PGM_RSRC2:TGID_Z_EN: 0
; COMPUTE_PGM_RSRC2:TIDIG_COMP_CNT: 1
; COMPUTE_PGM_RSRC3_GFX90A:ACCUM_OFFSET: 2
; COMPUTE_PGM_RSRC3_GFX90A:TG_SPLIT: 0
	.text
	.p2alignl 6, 3212836864
	.fill 256, 4, 3212836864
	.type	__hip_cuid_f169dc03e6e3834e,@object ; @__hip_cuid_f169dc03e6e3834e
	.section	.bss,"aw",@nobits
	.globl	__hip_cuid_f169dc03e6e3834e
__hip_cuid_f169dc03e6e3834e:
	.byte	0                               ; 0x0
	.size	__hip_cuid_f169dc03e6e3834e, 1

	.ident	"AMD clang version 19.0.0git (https://github.com/RadeonOpenCompute/llvm-project roc-6.4.0 25133 c7fe45cf4b819c5991fe208aaa96edf142730f1d)"
	.section	".note.GNU-stack","",@progbits
	.addrsig
	.addrsig_sym __hip_cuid_f169dc03e6e3834e
	.amdgpu_metadata
---
amdhsa.kernels:
  - .agpr_count:     0
    .args:           []
    .group_segment_fixed_size: 0
    .kernarg_segment_align: 4
    .kernarg_segment_size: 0
    .language:       OpenCL C
    .language_version:
      - 2
      - 0
    .max_flat_workgroup_size: 1024
    .name:           _ZN2ckL12flush_icacheEv
    .private_segment_fixed_size: 0
    .sgpr_count:     4
    .sgpr_spill_count: 0
    .symbol:         _ZN2ckL12flush_icacheEv.kd
    .uniform_work_group_size: 1
    .uses_dynamic_stack: false
    .vgpr_count:     0
    .vgpr_spill_count: 0
    .wavefront_size: 64
  - .agpr_count:     0
    .args:
      - .address_space:  global
        .offset:         0
        .size:           8
        .value_kind:     global_buffer
      - .address_space:  global
        .offset:         8
        .size:           8
        .value_kind:     global_buffer
      - .offset:         16
        .size:           1
        .value_kind:     by_value
      - .address_space:  global
        .offset:         24
        .size:           8
        .value_kind:     global_buffer
      - .offset:         32
        .size:           1
        .value_kind:     by_value
      - .offset:         33
        .size:           1
        .value_kind:     by_value
      - .offset:         34
        .size:           1
        .value_kind:     by_value
      - .offset:         40
        .size:           56
        .value_kind:     by_value
      - .offset:         96
        .size:           56
        .value_kind:     by_value
      - .offset:         152
        .size:           1
        .value_kind:     by_value
      - .offset:         160
        .size:           64
        .value_kind:     by_value
      - .offset:         224
        .size:           12
        .value_kind:     by_value
    .group_segment_fixed_size: 32768
    .kernarg_segment_align: 8
    .kernarg_segment_size: 236
    .language:       OpenCL C
    .language_version:
      - 2
      - 0
    .max_flat_workgroup_size: 256
    .name:           _ZN2ck51kernel_gemm_multiple_d_xdl_cshuffle_lds_direct_loadINS_48GridwiseGemmMultipleD_Xdl_CShuffle_LdsDirectLoadINS_13tensor_layout4gemm8RowMajorENS3_11ColumnMajorENS_5TupleIJEEES4_ffDB19_ffS7_fNS_16tensor_operation12element_wise11PassThroughESB_SB_LNS_25InMemoryDataOperationEnumE0ELNS9_6device18GemmSpecializationE0ELi1ELi256ELi128ELi128ELi32ELi8ELi8ELi32ELi32ELi2ELi2ENS_8SequenceIJLi4ELi8ELi8EEEENSF_IJLi1ELi0ELi2EEEELi2ELi1ELi1ESG_SH_Li2ELi1ELi1ELi1ELi1ENSF_IJLi1ELi8ELi1ELi8EEEELi4ELNS_13LoopSchedulerE0ELNS_15PipelineVersionE2ES8_EEffS7_fSB_SB_SB_NS_16TensorDescriptorINS6_IJNS_5EmbedINS6_IJiiEEENS6_IJiNS_17integral_constantIiLi1EEEEEELb0EEENS_11PassThroughIiEESU_NS_7UnMergeINS6_IJiNSP_IiLi8EEEEEELb0EEESU_EEENS6_IJNSF_IJLi0EEEENSF_IJLi1EEEENSF_IJLi2EEEENSF_IJLi4EEEENSF_IJLi3EEEEEEENS6_IJNSF_IJLi1ELi2EEEES14_S13_NSF_IJLi5ELi6EEEENSF_IJLi7EEEEEEENSF_IJLi5ELi7ELi6EEEElEES1B_S7_NSM_INS6_IJSS_SU_SU_NSV_INS6_IJiNSP_IiLi128EEEEEELb0EEES1E_EEENS6_IJS10_S11_S12_S14_S13_EEENS6_IJS16_S14_S13_S17_NSF_IJLi7ELi8EEEEEEENSF_IJLi5ELi6ELi7ELi8EEEElEENS_31BlockToCTileMap_M00_N0_M01AdaptILi128ELi128ENSM_INS6_IJSS_SU_SU_EEENS6_IJS10_S11_S12_EEENS6_IJS16_S14_S13_EEENSF_IJLi3ELi4EEEElEEiEELb1ELi2EEEvPKT0_PKT1_T2_PT3_T4_T5_T6_T7_T8_T9_T10_T11_
    .private_segment_fixed_size: 0
    .sgpr_count:     54
    .sgpr_spill_count: 0
    .symbol:         _ZN2ck51kernel_gemm_multiple_d_xdl_cshuffle_lds_direct_loadINS_48GridwiseGemmMultipleD_Xdl_CShuffle_LdsDirectLoadINS_13tensor_layout4gemm8RowMajorENS3_11ColumnMajorENS_5TupleIJEEES4_ffDB19_ffS7_fNS_16tensor_operation12element_wise11PassThroughESB_SB_LNS_25InMemoryDataOperationEnumE0ELNS9_6device18GemmSpecializationE0ELi1ELi256ELi128ELi128ELi32ELi8ELi8ELi32ELi32ELi2ELi2ENS_8SequenceIJLi4ELi8ELi8EEEENSF_IJLi1ELi0ELi2EEEELi2ELi1ELi1ESG_SH_Li2ELi1ELi1ELi1ELi1ENSF_IJLi1ELi8ELi1ELi8EEEELi4ELNS_13LoopSchedulerE0ELNS_15PipelineVersionE2ES8_EEffS7_fSB_SB_SB_NS_16TensorDescriptorINS6_IJNS_5EmbedINS6_IJiiEEENS6_IJiNS_17integral_constantIiLi1EEEEEELb0EEENS_11PassThroughIiEESU_NS_7UnMergeINS6_IJiNSP_IiLi8EEEEEELb0EEESU_EEENS6_IJNSF_IJLi0EEEENSF_IJLi1EEEENSF_IJLi2EEEENSF_IJLi4EEEENSF_IJLi3EEEEEEENS6_IJNSF_IJLi1ELi2EEEES14_S13_NSF_IJLi5ELi6EEEENSF_IJLi7EEEEEEENSF_IJLi5ELi7ELi6EEEElEES1B_S7_NSM_INS6_IJSS_SU_SU_NSV_INS6_IJiNSP_IiLi128EEEEEELb0EEES1E_EEENS6_IJS10_S11_S12_S14_S13_EEENS6_IJS16_S14_S13_S17_NSF_IJLi7ELi8EEEEEEENSF_IJLi5ELi6ELi7ELi8EEEElEENS_31BlockToCTileMap_M00_N0_M01AdaptILi128ELi128ENSM_INS6_IJSS_SU_SU_EEENS6_IJS10_S11_S12_EEENS6_IJS16_S14_S13_EEENSF_IJLi3ELi4EEEElEEiEELb1ELi2EEEvPKT0_PKT1_T2_PT3_T4_T5_T6_T7_T8_T9_T10_T11_.kd
    .uniform_work_group_size: 1
    .uses_dynamic_stack: false
    .vgpr_count:     116
    .vgpr_spill_count: 0
    .wavefront_size: 64
  - .agpr_count:     0
    .args:
      - .address_space:  global
        .offset:         0
        .size:           8
        .value_kind:     global_buffer
      - .address_space:  global
        .offset:         8
        .size:           8
        .value_kind:     global_buffer
      - .offset:         16
        .size:           1
        .value_kind:     by_value
      - .address_space:  global
        .offset:         24
        .size:           8
        .value_kind:     global_buffer
      - .offset:         32
        .size:           1
        .value_kind:     by_value
      - .offset:         33
        .size:           1
        .value_kind:     by_value
      - .offset:         34
        .size:           1
        .value_kind:     by_value
      - .offset:         40
        .size:           56
        .value_kind:     by_value
      - .offset:         96
        .size:           56
        .value_kind:     by_value
      - .offset:         152
        .size:           1
        .value_kind:     by_value
      - .offset:         160
        .size:           64
        .value_kind:     by_value
      - .offset:         224
        .size:           12
        .value_kind:     by_value
    .group_segment_fixed_size: 32768
    .kernarg_segment_align: 8
    .kernarg_segment_size: 236
    .language:       OpenCL C
    .language_version:
      - 2
      - 0
    .max_flat_workgroup_size: 256
    .name:           _ZN2ck51kernel_gemm_multiple_d_xdl_cshuffle_lds_direct_loadINS_48GridwiseGemmMultipleD_Xdl_CShuffle_LdsDirectLoadINS_13tensor_layout4gemm8RowMajorENS3_11ColumnMajorENS_5TupleIJEEES4_ffDB19_ffS7_fNS_16tensor_operation12element_wise11PassThroughESB_SB_LNS_25InMemoryDataOperationEnumE0ELNS9_6device18GemmSpecializationE0ELi1ELi256ELi128ELi128ELi32ELi8ELi8ELi32ELi32ELi2ELi2ENS_8SequenceIJLi4ELi8ELi8EEEENSF_IJLi1ELi0ELi2EEEELi2ELi1ELi1ESG_SH_Li2ELi1ELi1ELi1ELi1ENSF_IJLi1ELi8ELi1ELi8EEEELi4ELNS_13LoopSchedulerE0ELNS_15PipelineVersionE2ES8_EEffS7_fSB_SB_SB_NS_16TensorDescriptorINS6_IJNS_5EmbedINS6_IJiiEEENS6_IJiNS_17integral_constantIiLi1EEEEEELb0EEENS_11PassThroughIiEESU_NS_7UnMergeINS6_IJiNSP_IiLi8EEEEEELb0EEESU_EEENS6_IJNSF_IJLi0EEEENSF_IJLi1EEEENSF_IJLi2EEEENSF_IJLi4EEEENSF_IJLi3EEEEEEENS6_IJNSF_IJLi1ELi2EEEES14_S13_NSF_IJLi5ELi6EEEENSF_IJLi7EEEEEEENSF_IJLi5ELi7ELi6EEEElEES1B_S7_NSM_INS6_IJSS_SU_SU_NSV_INS6_IJiNSP_IiLi128EEEEEELb0EEES1E_EEENS6_IJS10_S11_S12_S14_S13_EEENS6_IJS16_S14_S13_S17_NSF_IJLi7ELi8EEEEEEENSF_IJLi5ELi6ELi7ELi8EEEElEENS_31BlockToCTileMap_M00_N0_M01AdaptILi128ELi128ENSM_INS6_IJSS_SU_SU_EEENS6_IJS10_S11_S12_EEENS6_IJS16_S14_S13_EEENSF_IJLi3ELi4EEEElEEiEELb0ELi2EEEvPKT0_PKT1_T2_PT3_T4_T5_T6_T7_T8_T9_T10_T11_
    .private_segment_fixed_size: 0
    .sgpr_count:     35
    .sgpr_spill_count: 0
    .symbol:         _ZN2ck51kernel_gemm_multiple_d_xdl_cshuffle_lds_direct_loadINS_48GridwiseGemmMultipleD_Xdl_CShuffle_LdsDirectLoadINS_13tensor_layout4gemm8RowMajorENS3_11ColumnMajorENS_5TupleIJEEES4_ffDB19_ffS7_fNS_16tensor_operation12element_wise11PassThroughESB_SB_LNS_25InMemoryDataOperationEnumE0ELNS9_6device18GemmSpecializationE0ELi1ELi256ELi128ELi128ELi32ELi8ELi8ELi32ELi32ELi2ELi2ENS_8SequenceIJLi4ELi8ELi8EEEENSF_IJLi1ELi0ELi2EEEELi2ELi1ELi1ESG_SH_Li2ELi1ELi1ELi1ELi1ENSF_IJLi1ELi8ELi1ELi8EEEELi4ELNS_13LoopSchedulerE0ELNS_15PipelineVersionE2ES8_EEffS7_fSB_SB_SB_NS_16TensorDescriptorINS6_IJNS_5EmbedINS6_IJiiEEENS6_IJiNS_17integral_constantIiLi1EEEEEELb0EEENS_11PassThroughIiEESU_NS_7UnMergeINS6_IJiNSP_IiLi8EEEEEELb0EEESU_EEENS6_IJNSF_IJLi0EEEENSF_IJLi1EEEENSF_IJLi2EEEENSF_IJLi4EEEENSF_IJLi3EEEEEEENS6_IJNSF_IJLi1ELi2EEEES14_S13_NSF_IJLi5ELi6EEEENSF_IJLi7EEEEEEENSF_IJLi5ELi7ELi6EEEElEES1B_S7_NSM_INS6_IJSS_SU_SU_NSV_INS6_IJiNSP_IiLi128EEEEEELb0EEES1E_EEENS6_IJS10_S11_S12_S14_S13_EEENS6_IJS16_S14_S13_S17_NSF_IJLi7ELi8EEEEEEENSF_IJLi5ELi6ELi7ELi8EEEElEENS_31BlockToCTileMap_M00_N0_M01AdaptILi128ELi128ENSM_INS6_IJSS_SU_SU_EEENS6_IJS10_S11_S12_EEENS6_IJS16_S14_S13_EEENSF_IJLi3ELi4EEEElEEiEELb0ELi2EEEvPKT0_PKT1_T2_PT3_T4_T5_T6_T7_T8_T9_T10_T11_.kd
    .uniform_work_group_size: 1
    .uses_dynamic_stack: false
    .vgpr_count:     102
    .vgpr_spill_count: 0
    .wavefront_size: 64
  - .agpr_count:     0
    .args:
      - .actual_access:  read_only
        .address_space:  global
        .offset:         0
        .size:           8
        .value_kind:     global_buffer
      - .actual_access:  read_only
        .address_space:  global
        .offset:         8
        .size:           8
        .value_kind:     global_buffer
      - .offset:         16
        .size:           1
        .value_kind:     by_value
      - .actual_access:  read_only
        .address_space:  global
        .offset:         24
        .size:           8
        .value_kind:     global_buffer
      - .offset:         32
        .size:           1
        .value_kind:     by_value
      - .offset:         33
        .size:           1
        .value_kind:     by_value
      - .offset:         34
        .size:           1
        .value_kind:     by_value
      - .offset:         40
        .size:           56
        .value_kind:     by_value
      - .offset:         96
        .size:           56
        .value_kind:     by_value
      - .offset:         152
        .size:           1
        .value_kind:     by_value
      - .offset:         160
        .size:           64
        .value_kind:     by_value
      - .offset:         224
        .size:           12
        .value_kind:     by_value
    .group_segment_fixed_size: 0
    .kernarg_segment_align: 8
    .kernarg_segment_size: 236
    .language:       OpenCL C
    .language_version:
      - 2
      - 0
    .max_flat_workgroup_size: 256
    .name:           _ZN2ck51kernel_gemm_multiple_d_xdl_cshuffle_lds_direct_loadINS_48GridwiseGemmMultipleD_Xdl_CShuffle_LdsDirectLoadINS_13tensor_layout4gemm8RowMajorENS3_11ColumnMajorENS_5TupleIJEEES4_ffDB19_ffS7_fNS_16tensor_operation12element_wise11PassThroughESB_SB_LNS_25InMemoryDataOperationEnumE0ELNS9_6device18GemmSpecializationE0ELi1ELi256ELi128ELi128ELi32ELi8ELi8ELi16ELi16ELi4ELi2ENS_8SequenceIJLi4ELi8ELi8EEEENSF_IJLi1ELi0ELi2EEEELi2ELi1ELi1ESG_SH_Li2ELi1ELi1ELi2ELi2ENSF_IJLi1ELi8ELi1ELi8EEEELi4ELNS_13LoopSchedulerE0ELNS_15PipelineVersionE2ES8_EEffS7_fSB_SB_SB_NS_16TensorDescriptorINS6_IJNS_5EmbedINS6_IJiiEEENS6_IJiNS_17integral_constantIiLi1EEEEEELb0EEENS_11PassThroughIiEESU_NS_7UnMergeINS6_IJiNSP_IiLi8EEEEEELb0EEESU_EEENS6_IJNSF_IJLi0EEEENSF_IJLi1EEEENSF_IJLi2EEEENSF_IJLi4EEEENSF_IJLi3EEEEEEENS6_IJNSF_IJLi1ELi2EEEES14_S13_NSF_IJLi5ELi6EEEENSF_IJLi7EEEEEEENSF_IJLi5ELi7ELi6EEEElEES1B_S7_NSM_INS6_IJSS_SU_SU_NSV_INS6_IJiNSP_IiLi128EEEEEELb0EEES1E_EEENS6_IJS10_S11_S12_S14_S13_EEENS6_IJS16_S14_S13_S17_NSF_IJLi7ELi8EEEEEEENSF_IJLi5ELi6ELi7ELi8EEEElEENS_31BlockToCTileMap_M00_N0_M01AdaptILi128ELi128ENSM_INS6_IJSS_SU_SU_EEENS6_IJS10_S11_S12_EEENS6_IJS16_S14_S13_EEENSF_IJLi3ELi4EEEElEEiEELb1ELi2EEEvPKT0_PKT1_T2_PT3_T4_T5_T6_T7_T8_T9_T10_T11_
    .private_segment_fixed_size: 0
    .sgpr_count:     4
    .sgpr_spill_count: 0
    .symbol:         _ZN2ck51kernel_gemm_multiple_d_xdl_cshuffle_lds_direct_loadINS_48GridwiseGemmMultipleD_Xdl_CShuffle_LdsDirectLoadINS_13tensor_layout4gemm8RowMajorENS3_11ColumnMajorENS_5TupleIJEEES4_ffDB19_ffS7_fNS_16tensor_operation12element_wise11PassThroughESB_SB_LNS_25InMemoryDataOperationEnumE0ELNS9_6device18GemmSpecializationE0ELi1ELi256ELi128ELi128ELi32ELi8ELi8ELi16ELi16ELi4ELi2ENS_8SequenceIJLi4ELi8ELi8EEEENSF_IJLi1ELi0ELi2EEEELi2ELi1ELi1ESG_SH_Li2ELi1ELi1ELi2ELi2ENSF_IJLi1ELi8ELi1ELi8EEEELi4ELNS_13LoopSchedulerE0ELNS_15PipelineVersionE2ES8_EEffS7_fSB_SB_SB_NS_16TensorDescriptorINS6_IJNS_5EmbedINS6_IJiiEEENS6_IJiNS_17integral_constantIiLi1EEEEEELb0EEENS_11PassThroughIiEESU_NS_7UnMergeINS6_IJiNSP_IiLi8EEEEEELb0EEESU_EEENS6_IJNSF_IJLi0EEEENSF_IJLi1EEEENSF_IJLi2EEEENSF_IJLi4EEEENSF_IJLi3EEEEEEENS6_IJNSF_IJLi1ELi2EEEES14_S13_NSF_IJLi5ELi6EEEENSF_IJLi7EEEEEEENSF_IJLi5ELi7ELi6EEEElEES1B_S7_NSM_INS6_IJSS_SU_SU_NSV_INS6_IJiNSP_IiLi128EEEEEELb0EEES1E_EEENS6_IJS10_S11_S12_S14_S13_EEENS6_IJS16_S14_S13_S17_NSF_IJLi7ELi8EEEEEEENSF_IJLi5ELi6ELi7ELi8EEEElEENS_31BlockToCTileMap_M00_N0_M01AdaptILi128ELi128ENSM_INS6_IJSS_SU_SU_EEENS6_IJS10_S11_S12_EEENS6_IJS16_S14_S13_EEENSF_IJLi3ELi4EEEElEEiEELb1ELi2EEEvPKT0_PKT1_T2_PT3_T4_T5_T6_T7_T8_T9_T10_T11_.kd
    .uniform_work_group_size: 1
    .uses_dynamic_stack: false
    .vgpr_count:     0
    .vgpr_spill_count: 0
    .wavefront_size: 64
  - .agpr_count:     0
    .args:
      - .actual_access:  read_only
        .address_space:  global
        .offset:         0
        .size:           8
        .value_kind:     global_buffer
      - .actual_access:  read_only
        .address_space:  global
        .offset:         8
        .size:           8
        .value_kind:     global_buffer
      - .offset:         16
        .size:           1
        .value_kind:     by_value
      - .actual_access:  read_only
        .address_space:  global
        .offset:         24
        .size:           8
        .value_kind:     global_buffer
      - .offset:         32
        .size:           1
        .value_kind:     by_value
      - .offset:         33
        .size:           1
        .value_kind:     by_value
      - .offset:         34
        .size:           1
        .value_kind:     by_value
      - .offset:         40
        .size:           56
        .value_kind:     by_value
      - .offset:         96
        .size:           56
        .value_kind:     by_value
      - .offset:         152
        .size:           1
        .value_kind:     by_value
      - .offset:         160
        .size:           64
        .value_kind:     by_value
      - .offset:         224
        .size:           12
        .value_kind:     by_value
    .group_segment_fixed_size: 0
    .kernarg_segment_align: 8
    .kernarg_segment_size: 236
    .language:       OpenCL C
    .language_version:
      - 2
      - 0
    .max_flat_workgroup_size: 256
    .name:           _ZN2ck51kernel_gemm_multiple_d_xdl_cshuffle_lds_direct_loadINS_48GridwiseGemmMultipleD_Xdl_CShuffle_LdsDirectLoadINS_13tensor_layout4gemm8RowMajorENS3_11ColumnMajorENS_5TupleIJEEES4_ffDB19_ffS7_fNS_16tensor_operation12element_wise11PassThroughESB_SB_LNS_25InMemoryDataOperationEnumE0ELNS9_6device18GemmSpecializationE0ELi1ELi256ELi128ELi128ELi32ELi8ELi8ELi16ELi16ELi4ELi2ENS_8SequenceIJLi4ELi8ELi8EEEENSF_IJLi1ELi0ELi2EEEELi2ELi1ELi1ESG_SH_Li2ELi1ELi1ELi2ELi2ENSF_IJLi1ELi8ELi1ELi8EEEELi4ELNS_13LoopSchedulerE0ELNS_15PipelineVersionE2ES8_EEffS7_fSB_SB_SB_NS_16TensorDescriptorINS6_IJNS_5EmbedINS6_IJiiEEENS6_IJiNS_17integral_constantIiLi1EEEEEELb0EEENS_11PassThroughIiEESU_NS_7UnMergeINS6_IJiNSP_IiLi8EEEEEELb0EEESU_EEENS6_IJNSF_IJLi0EEEENSF_IJLi1EEEENSF_IJLi2EEEENSF_IJLi4EEEENSF_IJLi3EEEEEEENS6_IJNSF_IJLi1ELi2EEEES14_S13_NSF_IJLi5ELi6EEEENSF_IJLi7EEEEEEENSF_IJLi5ELi7ELi6EEEElEES1B_S7_NSM_INS6_IJSS_SU_SU_NSV_INS6_IJiNSP_IiLi128EEEEEELb0EEES1E_EEENS6_IJS10_S11_S12_S14_S13_EEENS6_IJS16_S14_S13_S17_NSF_IJLi7ELi8EEEEEEENSF_IJLi5ELi6ELi7ELi8EEEElEENS_31BlockToCTileMap_M00_N0_M01AdaptILi128ELi128ENSM_INS6_IJSS_SU_SU_EEENS6_IJS10_S11_S12_EEENS6_IJS16_S14_S13_EEENSF_IJLi3ELi4EEEElEEiEELb0ELi2EEEvPKT0_PKT1_T2_PT3_T4_T5_T6_T7_T8_T9_T10_T11_
    .private_segment_fixed_size: 0
    .sgpr_count:     4
    .sgpr_spill_count: 0
    .symbol:         _ZN2ck51kernel_gemm_multiple_d_xdl_cshuffle_lds_direct_loadINS_48GridwiseGemmMultipleD_Xdl_CShuffle_LdsDirectLoadINS_13tensor_layout4gemm8RowMajorENS3_11ColumnMajorENS_5TupleIJEEES4_ffDB19_ffS7_fNS_16tensor_operation12element_wise11PassThroughESB_SB_LNS_25InMemoryDataOperationEnumE0ELNS9_6device18GemmSpecializationE0ELi1ELi256ELi128ELi128ELi32ELi8ELi8ELi16ELi16ELi4ELi2ENS_8SequenceIJLi4ELi8ELi8EEEENSF_IJLi1ELi0ELi2EEEELi2ELi1ELi1ESG_SH_Li2ELi1ELi1ELi2ELi2ENSF_IJLi1ELi8ELi1ELi8EEEELi4ELNS_13LoopSchedulerE0ELNS_15PipelineVersionE2ES8_EEffS7_fSB_SB_SB_NS_16TensorDescriptorINS6_IJNS_5EmbedINS6_IJiiEEENS6_IJiNS_17integral_constantIiLi1EEEEEELb0EEENS_11PassThroughIiEESU_NS_7UnMergeINS6_IJiNSP_IiLi8EEEEEELb0EEESU_EEENS6_IJNSF_IJLi0EEEENSF_IJLi1EEEENSF_IJLi2EEEENSF_IJLi4EEEENSF_IJLi3EEEEEEENS6_IJNSF_IJLi1ELi2EEEES14_S13_NSF_IJLi5ELi6EEEENSF_IJLi7EEEEEEENSF_IJLi5ELi7ELi6EEEElEES1B_S7_NSM_INS6_IJSS_SU_SU_NSV_INS6_IJiNSP_IiLi128EEEEEELb0EEES1E_EEENS6_IJS10_S11_S12_S14_S13_EEENS6_IJS16_S14_S13_S17_NSF_IJLi7ELi8EEEEEEENSF_IJLi5ELi6ELi7ELi8EEEElEENS_31BlockToCTileMap_M00_N0_M01AdaptILi128ELi128ENSM_INS6_IJSS_SU_SU_EEENS6_IJS10_S11_S12_EEENS6_IJS16_S14_S13_EEENSF_IJLi3ELi4EEEElEEiEELb0ELi2EEEvPKT0_PKT1_T2_PT3_T4_T5_T6_T7_T8_T9_T10_T11_.kd
    .uniform_work_group_size: 1
    .uses_dynamic_stack: false
    .vgpr_count:     0
    .vgpr_spill_count: 0
    .wavefront_size: 64
  - .agpr_count:     0
    .args:
      - .actual_access:  read_only
        .address_space:  global
        .offset:         0
        .size:           8
        .value_kind:     global_buffer
      - .actual_access:  read_only
        .address_space:  global
        .offset:         8
        .size:           8
        .value_kind:     global_buffer
      - .actual_access:  write_only
        .address_space:  global
        .offset:         16
        .size:           8
        .value_kind:     global_buffer
      - .offset:         24
        .size:           4
        .value_kind:     by_value
      - .offset:         28
        .size:           4
        .value_kind:     by_value
      - .offset:         32
        .size:           4
        .value_kind:     by_value
      - .offset:         36
        .size:           1
        .value_kind:     by_value
      - .offset:         37
        .size:           1
        .value_kind:     by_value
      - .offset:         38
        .size:           1
        .value_kind:     by_value
      - .offset:         40
        .size:           4
        .value_kind:     hidden_block_count_x
      - .offset:         44
        .size:           4
        .value_kind:     hidden_block_count_y
      - .offset:         48
        .size:           4
        .value_kind:     hidden_block_count_z
      - .offset:         52
        .size:           2
        .value_kind:     hidden_group_size_x
      - .offset:         54
        .size:           2
        .value_kind:     hidden_group_size_y
      - .offset:         56
        .size:           2
        .value_kind:     hidden_group_size_z
      - .offset:         58
        .size:           2
        .value_kind:     hidden_remainder_x
      - .offset:         60
        .size:           2
        .value_kind:     hidden_remainder_y
      - .offset:         62
        .size:           2
        .value_kind:     hidden_remainder_z
      - .offset:         80
        .size:           8
        .value_kind:     hidden_global_offset_x
      - .offset:         88
        .size:           8
        .value_kind:     hidden_global_offset_y
      - .offset:         96
        .size:           8
        .value_kind:     hidden_global_offset_z
      - .offset:         104
        .size:           2
        .value_kind:     hidden_grid_dims
    .group_segment_fixed_size: 0
    .kernarg_segment_align: 8
    .kernarg_segment_size: 296
    .language:       OpenCL C
    .language_version:
      - 2
      - 0
    .max_flat_workgroup_size: 256
    .name:           _ZN2ck17naive_gemm_kernelINS_13tensor_layout4gemm8RowMajorENS2_11ColumnMajorES3_ffffNS_16tensor_operation12element_wise11PassThroughES7_S7_ffEEvPKT2_PKT3_PT4_iiiT6_T7_T8_
    .private_segment_fixed_size: 0
    .sgpr_count:     16
    .sgpr_spill_count: 0
    .symbol:         _ZN2ck17naive_gemm_kernelINS_13tensor_layout4gemm8RowMajorENS2_11ColumnMajorES3_ffffNS_16tensor_operation12element_wise11PassThroughES7_S7_ffEEvPKT2_PKT3_PT4_iiiT6_T7_T8_.kd
    .uniform_work_group_size: 1
    .uses_dynamic_stack: false
    .vgpr_count:     9
    .vgpr_spill_count: 0
    .wavefront_size: 64
amdhsa.target:   amdgcn-amd-amdhsa--gfx90a
amdhsa.version:
  - 1
  - 2
...

	.end_amdgpu_metadata
